;; amdgpu-corpus repo=ROCm/rocFFT kind=compiled arch=gfx1030 opt=O3
	.text
	.amdgcn_target "amdgcn-amd-amdhsa--gfx1030"
	.amdhsa_code_object_version 6
	.protected	fft_rtc_back_len1400_factors_2_2_2_5_7_5_wgs_56_tpt_56_halfLds_dp_op_CI_CI_unitstride_sbrr_dirReg ; -- Begin function fft_rtc_back_len1400_factors_2_2_2_5_7_5_wgs_56_tpt_56_halfLds_dp_op_CI_CI_unitstride_sbrr_dirReg
	.globl	fft_rtc_back_len1400_factors_2_2_2_5_7_5_wgs_56_tpt_56_halfLds_dp_op_CI_CI_unitstride_sbrr_dirReg
	.p2align	8
	.type	fft_rtc_back_len1400_factors_2_2_2_5_7_5_wgs_56_tpt_56_halfLds_dp_op_CI_CI_unitstride_sbrr_dirReg,@function
fft_rtc_back_len1400_factors_2_2_2_5_7_5_wgs_56_tpt_56_halfLds_dp_op_CI_CI_unitstride_sbrr_dirReg: ; @fft_rtc_back_len1400_factors_2_2_2_5_7_5_wgs_56_tpt_56_halfLds_dp_op_CI_CI_unitstride_sbrr_dirReg
; %bb.0:
	s_clause 0x2
	s_load_dwordx4 s[12:15], s[4:5], 0x0
	s_load_dwordx4 s[8:11], s[4:5], 0x58
	;; [unrolled: 1-line block ×3, first 2 shown]
	v_mul_u32_u24_e32 v2, 0x493, v0
	v_mov_b32_e32 v1, 0
	v_mov_b32_e32 v4, 0
	;; [unrolled: 1-line block ×3, first 2 shown]
	v_add_nc_u32_sdwa v6, s6, v2 dst_sel:DWORD dst_unused:UNUSED_PAD src0_sel:DWORD src1_sel:WORD_1
	v_mov_b32_e32 v7, v1
	s_waitcnt lgkmcnt(0)
	v_cmp_lt_u64_e64 s0, s[14:15], 2
	s_and_b32 vcc_lo, exec_lo, s0
	s_cbranch_vccnz .LBB0_8
; %bb.1:
	s_load_dwordx2 s[0:1], s[4:5], 0x10
	v_mov_b32_e32 v4, 0
	v_mov_b32_e32 v5, 0
	s_add_u32 s2, s18, 8
	s_addc_u32 s3, s19, 0
	s_add_u32 s6, s16, 8
	s_addc_u32 s7, s17, 0
	v_mov_b32_e32 v153, v5
	v_mov_b32_e32 v152, v4
	s_mov_b64 s[22:23], 1
	s_waitcnt lgkmcnt(0)
	s_add_u32 s20, s0, 8
	s_addc_u32 s21, s1, 0
.LBB0_2:                                ; =>This Inner Loop Header: Depth=1
	s_load_dwordx2 s[24:25], s[20:21], 0x0
                                        ; implicit-def: $vgpr154_vgpr155
	s_mov_b32 s0, exec_lo
	s_waitcnt lgkmcnt(0)
	v_or_b32_e32 v2, s25, v7
	v_cmpx_ne_u64_e32 0, v[1:2]
	s_xor_b32 s1, exec_lo, s0
	s_cbranch_execz .LBB0_4
; %bb.3:                                ;   in Loop: Header=BB0_2 Depth=1
	v_cvt_f32_u32_e32 v2, s24
	v_cvt_f32_u32_e32 v3, s25
	s_sub_u32 s0, 0, s24
	s_subb_u32 s26, 0, s25
	v_fmac_f32_e32 v2, 0x4f800000, v3
	v_rcp_f32_e32 v2, v2
	v_mul_f32_e32 v2, 0x5f7ffffc, v2
	v_mul_f32_e32 v3, 0x2f800000, v2
	v_trunc_f32_e32 v3, v3
	v_fmac_f32_e32 v2, 0xcf800000, v3
	v_cvt_u32_f32_e32 v3, v3
	v_cvt_u32_f32_e32 v2, v2
	v_mul_lo_u32 v8, s0, v3
	v_mul_hi_u32 v9, s0, v2
	v_mul_lo_u32 v10, s26, v2
	v_add_nc_u32_e32 v8, v9, v8
	v_mul_lo_u32 v9, s0, v2
	v_add_nc_u32_e32 v8, v8, v10
	v_mul_hi_u32 v10, v2, v9
	v_mul_lo_u32 v11, v2, v8
	v_mul_hi_u32 v12, v2, v8
	v_mul_hi_u32 v13, v3, v9
	v_mul_lo_u32 v9, v3, v9
	v_mul_hi_u32 v14, v3, v8
	v_mul_lo_u32 v8, v3, v8
	v_add_co_u32 v10, vcc_lo, v10, v11
	v_add_co_ci_u32_e32 v11, vcc_lo, 0, v12, vcc_lo
	v_add_co_u32 v9, vcc_lo, v10, v9
	v_add_co_ci_u32_e32 v9, vcc_lo, v11, v13, vcc_lo
	v_add_co_ci_u32_e32 v10, vcc_lo, 0, v14, vcc_lo
	v_add_co_u32 v8, vcc_lo, v9, v8
	v_add_co_ci_u32_e32 v9, vcc_lo, 0, v10, vcc_lo
	v_add_co_u32 v2, vcc_lo, v2, v8
	v_add_co_ci_u32_e32 v3, vcc_lo, v3, v9, vcc_lo
	v_mul_hi_u32 v8, s0, v2
	v_mul_lo_u32 v10, s26, v2
	v_mul_lo_u32 v9, s0, v3
	v_add_nc_u32_e32 v8, v8, v9
	v_mul_lo_u32 v9, s0, v2
	v_add_nc_u32_e32 v8, v8, v10
	v_mul_hi_u32 v10, v2, v9
	v_mul_lo_u32 v11, v2, v8
	v_mul_hi_u32 v12, v2, v8
	v_mul_hi_u32 v13, v3, v9
	v_mul_lo_u32 v9, v3, v9
	v_mul_hi_u32 v14, v3, v8
	v_mul_lo_u32 v8, v3, v8
	v_add_co_u32 v10, vcc_lo, v10, v11
	v_add_co_ci_u32_e32 v11, vcc_lo, 0, v12, vcc_lo
	v_add_co_u32 v9, vcc_lo, v10, v9
	v_add_co_ci_u32_e32 v9, vcc_lo, v11, v13, vcc_lo
	v_add_co_ci_u32_e32 v10, vcc_lo, 0, v14, vcc_lo
	v_add_co_u32 v8, vcc_lo, v9, v8
	v_add_co_ci_u32_e32 v9, vcc_lo, 0, v10, vcc_lo
	v_add_co_u32 v8, vcc_lo, v2, v8
	v_add_co_ci_u32_e32 v10, vcc_lo, v3, v9, vcc_lo
	v_mul_hi_u32 v12, v6, v8
	v_mad_u64_u32 v[8:9], null, v7, v8, 0
	v_mad_u64_u32 v[2:3], null, v6, v10, 0
	;; [unrolled: 1-line block ×3, first 2 shown]
	v_add_co_u32 v2, vcc_lo, v12, v2
	v_add_co_ci_u32_e32 v3, vcc_lo, 0, v3, vcc_lo
	v_add_co_u32 v2, vcc_lo, v2, v8
	v_add_co_ci_u32_e32 v2, vcc_lo, v3, v9, vcc_lo
	v_add_co_ci_u32_e32 v3, vcc_lo, 0, v11, vcc_lo
	v_add_co_u32 v8, vcc_lo, v2, v10
	v_add_co_ci_u32_e32 v9, vcc_lo, 0, v3, vcc_lo
	v_mul_lo_u32 v10, s25, v8
	v_mad_u64_u32 v[2:3], null, s24, v8, 0
	v_mul_lo_u32 v11, s24, v9
	v_sub_co_u32 v2, vcc_lo, v6, v2
	v_add3_u32 v3, v3, v11, v10
	v_sub_nc_u32_e32 v10, v7, v3
	v_subrev_co_ci_u32_e64 v10, s0, s25, v10, vcc_lo
	v_add_co_u32 v11, s0, v8, 2
	v_add_co_ci_u32_e64 v12, s0, 0, v9, s0
	v_sub_co_u32 v13, s0, v2, s24
	v_sub_co_ci_u32_e32 v3, vcc_lo, v7, v3, vcc_lo
	v_subrev_co_ci_u32_e64 v10, s0, 0, v10, s0
	v_cmp_le_u32_e32 vcc_lo, s24, v13
	v_cmp_eq_u32_e64 s0, s25, v3
	v_cndmask_b32_e64 v13, 0, -1, vcc_lo
	v_cmp_le_u32_e32 vcc_lo, s25, v10
	v_cndmask_b32_e64 v14, 0, -1, vcc_lo
	v_cmp_le_u32_e32 vcc_lo, s24, v2
	;; [unrolled: 2-line block ×3, first 2 shown]
	v_cndmask_b32_e64 v15, 0, -1, vcc_lo
	v_cmp_eq_u32_e32 vcc_lo, s25, v10
	v_cndmask_b32_e64 v2, v15, v2, s0
	v_cndmask_b32_e32 v10, v14, v13, vcc_lo
	v_add_co_u32 v13, vcc_lo, v8, 1
	v_add_co_ci_u32_e32 v14, vcc_lo, 0, v9, vcc_lo
	v_cmp_ne_u32_e32 vcc_lo, 0, v10
	v_cndmask_b32_e32 v3, v14, v12, vcc_lo
	v_cndmask_b32_e32 v10, v13, v11, vcc_lo
	v_cmp_ne_u32_e32 vcc_lo, 0, v2
	v_cndmask_b32_e32 v155, v9, v3, vcc_lo
	v_cndmask_b32_e32 v154, v8, v10, vcc_lo
.LBB0_4:                                ;   in Loop: Header=BB0_2 Depth=1
	s_andn2_saveexec_b32 s0, s1
	s_cbranch_execz .LBB0_6
; %bb.5:                                ;   in Loop: Header=BB0_2 Depth=1
	v_cvt_f32_u32_e32 v2, s24
	s_sub_i32 s1, 0, s24
	v_mov_b32_e32 v155, v1
	v_rcp_iflag_f32_e32 v2, v2
	v_mul_f32_e32 v2, 0x4f7ffffe, v2
	v_cvt_u32_f32_e32 v2, v2
	v_mul_lo_u32 v3, s1, v2
	v_mul_hi_u32 v3, v2, v3
	v_add_nc_u32_e32 v2, v2, v3
	v_mul_hi_u32 v2, v6, v2
	v_mul_lo_u32 v3, v2, s24
	v_add_nc_u32_e32 v8, 1, v2
	v_sub_nc_u32_e32 v3, v6, v3
	v_subrev_nc_u32_e32 v9, s24, v3
	v_cmp_le_u32_e32 vcc_lo, s24, v3
	v_cndmask_b32_e32 v3, v3, v9, vcc_lo
	v_cndmask_b32_e32 v2, v2, v8, vcc_lo
	v_cmp_le_u32_e32 vcc_lo, s24, v3
	v_add_nc_u32_e32 v8, 1, v2
	v_cndmask_b32_e32 v154, v2, v8, vcc_lo
.LBB0_6:                                ;   in Loop: Header=BB0_2 Depth=1
	s_or_b32 exec_lo, exec_lo, s0
	v_mul_lo_u32 v8, v155, s24
	v_mul_lo_u32 v9, v154, s25
	s_load_dwordx2 s[0:1], s[6:7], 0x0
	v_mad_u64_u32 v[2:3], null, v154, s24, 0
	s_load_dwordx2 s[24:25], s[2:3], 0x0
	s_add_u32 s22, s22, 1
	s_addc_u32 s23, s23, 0
	s_add_u32 s2, s2, 8
	s_addc_u32 s3, s3, 0
	s_add_u32 s6, s6, 8
	v_add3_u32 v3, v3, v9, v8
	v_sub_co_u32 v2, vcc_lo, v6, v2
	s_addc_u32 s7, s7, 0
	s_add_u32 s20, s20, 8
	v_sub_co_ci_u32_e32 v3, vcc_lo, v7, v3, vcc_lo
	s_addc_u32 s21, s21, 0
	s_waitcnt lgkmcnt(0)
	v_mul_lo_u32 v6, s0, v3
	v_mul_lo_u32 v7, s1, v2
	v_mad_u64_u32 v[4:5], null, s0, v2, v[4:5]
	v_mul_lo_u32 v3, s24, v3
	v_mul_lo_u32 v8, s25, v2
	v_mad_u64_u32 v[152:153], null, s24, v2, v[152:153]
	v_cmp_ge_u64_e64 s0, s[22:23], s[14:15]
	v_add3_u32 v5, v7, v5, v6
	v_add3_u32 v153, v8, v153, v3
	s_and_b32 vcc_lo, exec_lo, s0
	s_cbranch_vccnz .LBB0_9
; %bb.7:                                ;   in Loop: Header=BB0_2 Depth=1
	v_mov_b32_e32 v6, v154
	v_mov_b32_e32 v7, v155
	s_branch .LBB0_2
.LBB0_8:
	v_mov_b32_e32 v153, v5
	v_mov_b32_e32 v155, v7
	;; [unrolled: 1-line block ×4, first 2 shown]
.LBB0_9:
	s_load_dwordx2 s[0:1], s[4:5], 0x28
	v_mul_hi_u32 v1, 0x4924925, v0
	s_lshl_b64 s[4:5], s[14:15], 3
                                        ; implicit-def: $vgpr162
                                        ; implicit-def: $vgpr158
	s_add_u32 s2, s18, s4
	s_addc_u32 s3, s19, s5
	s_waitcnt lgkmcnt(0)
	v_cmp_gt_u64_e32 vcc_lo, s[0:1], v[154:155]
	v_cmp_le_u64_e64 s0, s[0:1], v[154:155]
	s_and_saveexec_b32 s1, s0
	s_xor_b32 s0, exec_lo, s1
; %bb.10:
	v_mul_u32_u24_e32 v1, 56, v1
                                        ; implicit-def: $vgpr4_vgpr5
	v_sub_nc_u32_e32 v162, v0, v1
                                        ; implicit-def: $vgpr1
                                        ; implicit-def: $vgpr0
	v_or_b32_e32 v158, 0x1c0, v162
; %bb.11:
	s_or_saveexec_b32 s1, s0
	s_load_dwordx2 s[2:3], s[2:3], 0x0
                                        ; implicit-def: $vgpr90_vgpr91
                                        ; implicit-def: $vgpr58_vgpr59
                                        ; implicit-def: $vgpr66_vgpr67
                                        ; implicit-def: $vgpr18_vgpr19
                                        ; implicit-def: $vgpr74_vgpr75
                                        ; implicit-def: $vgpr26_vgpr27
                                        ; implicit-def: $vgpr82_vgpr83
                                        ; implicit-def: $vgpr22_vgpr23
                                        ; implicit-def: $vgpr86_vgpr87
                                        ; implicit-def: $vgpr34_vgpr35
                                        ; implicit-def: $vgpr94_vgpr95
                                        ; implicit-def: $vgpr38_vgpr39
                                        ; implicit-def: $vgpr98_vgpr99
                                        ; implicit-def: $vgpr30_vgpr31
                                        ; implicit-def: $vgpr102_vgpr103
                                        ; implicit-def: $vgpr46_vgpr47
                                        ; implicit-def: $vgpr106_vgpr107
                                        ; implicit-def: $vgpr42_vgpr43
                                        ; implicit-def: $vgpr50_vgpr51
                                        ; implicit-def: $vgpr14_vgpr15
                                        ; implicit-def: $vgpr62_vgpr63
                                        ; implicit-def: $vgpr10_vgpr11
                                        ; implicit-def: $vgpr70_vgpr71
                                        ; implicit-def: $vgpr2_vgpr3
                                        ; implicit-def: $vgpr78_vgpr79
                                        ; implicit-def: $vgpr6_vgpr7
	s_xor_b32 exec_lo, exec_lo, s1
	s_cbranch_execz .LBB0_15
; %bb.12:
	s_add_u32 s4, s16, s4
	s_addc_u32 s5, s17, s5
                                        ; implicit-def: $vgpr88_vgpr89
	s_load_dwordx2 s[4:5], s[4:5], 0x0
	s_waitcnt lgkmcnt(0)
	v_mul_lo_u32 v6, s5, v154
	v_mul_lo_u32 v7, s4, v155
	v_mad_u64_u32 v[2:3], null, s4, v154, 0
	s_mov_b32 s4, exec_lo
	v_add3_u32 v3, v3, v7, v6
	v_mul_u32_u24_e32 v6, 56, v1
	v_lshlrev_b64 v[1:2], 4, v[2:3]
	v_lshlrev_b64 v[3:4], 4, v[4:5]
	v_sub_nc_u32_e32 v162, v0, v6
	v_add_co_u32 v0, s0, s8, v1
	v_add_co_ci_u32_e64 v1, s0, s9, v2, s0
	v_lshlrev_b32_e32 v2, 4, v162
	v_add_co_u32 v54, s0, v0, v3
	v_add_co_ci_u32_e64 v55, s0, v1, v4, s0
	v_or_b32_e32 v158, 0x1c0, v162
	v_add_co_u32 v16, s0, v54, v2
	v_add_co_ci_u32_e64 v17, s0, 0, v55, s0
	v_lshlrev_b32_e32 v28, 4, v158
	v_add_co_u32 v12, s0, 0x2800, v16
	v_add_co_ci_u32_e64 v13, s0, 0, v17, s0
	v_add_co_u32 v18, s0, 0x3000, v16
	v_add_co_ci_u32_e64 v19, s0, 0, v17, s0
	;; [unrolled: 2-line block ×7, first 2 shown]
	s_clause 0x7
	global_load_dwordx4 v[4:7], v[16:17], off
	global_load_dwordx4 v[0:3], v[16:17], off offset:896
	global_load_dwordx4 v[76:79], v[12:13], off offset:960
	;; [unrolled: 1-line block ×7, first 2 shown]
	v_add_co_u32 v18, s0, v54, v28
	v_add_co_ci_u32_e64 v19, s0, 0, v55, s0
	v_add_co_u32 v56, s0, 0x4800, v16
	v_add_co_ci_u32_e64 v57, s0, 0, v17, s0
	;; [unrolled: 2-line block ×4, first 2 shown]
	s_clause 0xf
	global_load_dwordx4 v[40:43], v[20:21], off offset:1536
	global_load_dwordx4 v[104:107], v[22:23], off offset:448
	;; [unrolled: 1-line block ×10, first 2 shown]
	global_load_dwordx4 v[32:35], v[18:19], off
	global_load_dwordx4 v[80:83], v[56:57], off offset:832
	global_load_dwordx4 v[72:75], v[56:57], off offset:1728
	global_load_dwordx4 v[24:27], v[58:59], off offset:768
	global_load_dwordx4 v[16:19], v[58:59], off offset:1664
	global_load_dwordx4 v[64:67], v[52:53], off offset:576
                                        ; implicit-def: $vgpr56_vgpr57
	v_cmpx_gt_u32_e32 28, v162
; %bb.13:
	v_or_b32_e32 v56, 0x2a0, v162
	v_mov_b32_e32 v57, 0
	v_lshlrev_b64 v[56:57], 4, v[56:57]
	v_add_co_u32 v54, s0, v54, v56
	v_add_co_ci_u32_e64 v55, s0, v55, v57, s0
	s_clause 0x1
	global_load_dwordx4 v[56:59], v[54:55], off
	global_load_dwordx4 v[88:91], v[52:53], off offset:1472
; %bb.14:
	s_or_b32 exec_lo, exec_lo, s4
.LBB0_15:
	s_or_b32 exec_lo, exec_lo, s1
	s_waitcnt vmcnt(21)
	v_add_f64 v[110:111], v[4:5], -v[76:77]
	s_waitcnt vmcnt(5)
	v_add_f64 v[142:143], v[32:33], -v[84:85]
	;; [unrolled: 2-line block ×3, first 2 shown]
	v_add_f64 v[114:115], v[0:1], -v[68:69]
	v_add_f64 v[146:147], v[20:21], -v[80:81]
	;; [unrolled: 1-line block ×10, first 2 shown]
	v_add_nc_u32_e32 v164, 56, v162
	v_add_nc_u32_e32 v165, 0x70, v162
	;; [unrolled: 1-line block ×5, first 2 shown]
	v_lshl_add_u32 v49, v162, 4, 0
	v_lshl_add_u32 v64, v164, 4, 0
	;; [unrolled: 1-line block ×4, first 2 shown]
	v_fma_f64 v[108:109], v[4:5], 2.0, -v[110:111]
	v_fma_f64 v[140:141], v[32:33], 2.0, -v[142:143]
	;; [unrolled: 1-line block ×13, first 2 shown]
	v_add_nc_u32_e32 v37, 0x150, v162
	v_add_nc_u32_e32 v40, 0x188, v162
	;; [unrolled: 1-line block ×6, first 2 shown]
	v_lshl_add_u32 v29, v167, 4, 0
	v_lshl_add_u32 v28, v48, 4, 0
	;; [unrolled: 1-line block ×8, first 2 shown]
	v_cmp_gt_u32_e64 s0, 28, v162
	v_lshl_add_u32 v8, v36, 4, 0
	ds_write_b128 v49, v[108:111]
	ds_write_b128 v64, v[112:115]
	;; [unrolled: 1-line block ×12, first 2 shown]
	s_and_saveexec_b32 s1, s0
	s_cbranch_execz .LBB0_17
; %bb.16:
	ds_write_b128 v8, v[52:55]
.LBB0_17:
	s_or_b32 exec_lo, exec_lo, s1
	v_lshl_add_u32 v163, v162, 3, 0
	s_waitcnt lgkmcnt(0)
	s_barrier
	buffer_gl0_inv
	v_lshl_add_u32 v159, v158, 3, 0
	v_add_nc_u32_e32 v0, 0x1000, v163
	v_add_nc_u32_e32 v1, 0x1400, v163
	;; [unrolled: 1-line block ×4, first 2 shown]
	ds_read2_b64 v[132:135], v163 offset1:56
	ds_read2_b64 v[116:119], v0 offset0:104 offset1:188
	ds_read2_b64 v[112:115], v1 offset0:116 offset1:172
	;; [unrolled: 1-line block ×4, first 2 shown]
	v_add_nc_u32_e32 v0, 0x1c00, v163
	v_add_nc_u32_e32 v1, 0x800, v163
	;; [unrolled: 1-line block ×3, first 2 shown]
	ds_read2_b64 v[140:143], v5 offset0:96 offset1:152
	v_add_nc_u32_e32 v5, 0xc00, v163
	ds_read2_b64 v[128:131], v0 offset0:84 offset1:140
	ds_read2_b64 v[148:151], v1 offset0:80 offset1:136
	;; [unrolled: 1-line block ×5, first 2 shown]
	ds_read_b64 v[32:33], v159
	ds_read_b64 v[0:1], v163 offset:10528
	s_and_saveexec_b32 s1, s0
	s_cbranch_execz .LBB0_19
; %bb.18:
	ds_read_b64 v[52:53], v163 offset:5376
	ds_read_b64 v[54:55], v163 offset:10976
.LBB0_19:
	s_or_b32 exec_lo, exec_lo, s1
	v_add_f64 v[68:69], v[6:7], -v[78:79]
	v_add_f64 v[72:73], v[2:3], -v[70:71]
	;; [unrolled: 1-line block ×13, first 2 shown]
	s_waitcnt lgkmcnt(0)
	s_barrier
	buffer_gl0_inv
	v_fma_f64 v[66:67], v[6:7], 2.0, -v[68:69]
	v_fma_f64 v[70:71], v[2:3], 2.0, -v[72:73]
	;; [unrolled: 1-line block ×13, first 2 shown]
	ds_write_b128 v49, v[66:69]
	ds_write_b128 v64, v[70:73]
	;; [unrolled: 1-line block ×12, first 2 shown]
	s_and_saveexec_b32 s1, s0
	s_cbranch_execz .LBB0_21
; %bb.20:
	ds_write_b128 v8, v[2:5]
.LBB0_21:
	s_or_b32 exec_lo, exec_lo, s1
	v_add_nc_u32_e32 v6, 0x1000, v163
	v_add_nc_u32_e32 v14, 0x1400, v163
	;; [unrolled: 1-line block ×3, first 2 shown]
	s_waitcnt lgkmcnt(0)
	s_barrier
	buffer_gl0_inv
	ds_read2_b64 v[10:13], v163 offset1:56
	ds_read2_b64 v[6:9], v6 offset0:104 offset1:188
	ds_read2_b64 v[56:59], v14 offset0:116 offset1:172
	;; [unrolled: 1-line block ×4, first 2 shown]
	v_add_nc_u32_e32 v18, 0x400, v163
	v_add_nc_u32_e32 v19, 0x1c00, v163
	;; [unrolled: 1-line block ×5, first 2 shown]
	ds_read2_b64 v[22:25], v18 offset0:96 offset1:152
	ds_read2_b64 v[64:67], v19 offset0:84 offset1:140
	;; [unrolled: 1-line block ×6, first 2 shown]
	ds_read_b64 v[104:105], v159
	ds_read_b64 v[156:157], v163 offset:10528
	v_lshlrev_b32_e32 v177, 1, v162
	v_lshlrev_b32_e32 v176, 1, v164
	;; [unrolled: 1-line block ×12, first 2 shown]
	s_and_saveexec_b32 s1, s0
	s_cbranch_execz .LBB0_23
; %bb.22:
	ds_read_b64 v[2:3], v163 offset:5376
	ds_read_b64 v[4:5], v163 offset:10976
.LBB0_23:
	s_or_b32 exec_lo, exec_lo, s1
	v_and_b32_e32 v178, 1, v162
	v_lshlrev_b32_e32 v158, 1, v36
	v_lshlrev_b32_e32 v30, 4, v178
	v_and_or_b32 v88, 0x1fc, v175, v178
	v_and_or_b32 v182, 0x1fc, v174, v178
	;; [unrolled: 1-line block ×4, first 2 shown]
	global_load_dwordx4 v[84:87], v30, s[12:13]
	v_lshl_add_u32 v181, v88, 3, 0
	v_and_or_b32 v185, 0x3fc, v171, v178
	v_and_or_b32 v186, 0x3fc, v170, v178
	;; [unrolled: 1-line block ×6, first 2 shown]
	s_waitcnt vmcnt(0) lgkmcnt(0)
	s_barrier
	buffer_gl0_inv
	v_mul_f64 v[30:31], v[8:9], v[86:87]
	v_mul_f64 v[37:38], v[58:59], v[86:87]
	;; [unrolled: 1-line block ×13, first 2 shown]
	v_fma_f64 v[30:31], v[118:119], v[84:85], v[30:31]
	v_fma_f64 v[36:37], v[114:115], v[84:85], v[37:38]
	;; [unrolled: 1-line block ×13, first 2 shown]
	v_and_or_b32 v82, 0x7c, v177, v178
	v_and_or_b32 v83, 0xfc, v176, v178
	v_lshl_add_u32 v179, v82, 3, 0
	v_lshl_add_u32 v180, v83, 3, 0
	v_add_f64 v[30:31], v[132:133], -v[30:31]
	v_add_f64 v[36:37], v[136:137], -v[36:37]
	;; [unrolled: 1-line block ×13, first 2 shown]
	v_fma_f64 v[80:81], v[132:133], 2.0, -v[30:31]
	v_fma_f64 v[88:89], v[136:137], 2.0, -v[36:37]
	;; [unrolled: 1-line block ×13, first 2 shown]
	v_lshl_add_u32 v132, v182, 3, 0
	v_lshl_add_u32 v133, v183, 3, 0
	;; [unrolled: 1-line block ×9, first 2 shown]
	ds_write2_b64 v179, v[80:81], v[30:31] offset1:2
	ds_write2_b64 v180, v[82:83], v[34:35] offset1:2
	;; [unrolled: 1-line block ×12, first 2 shown]
	s_and_saveexec_b32 s1, s0
	s_cbranch_execz .LBB0_25
; %bb.24:
	v_and_or_b32 v30, 0x57c, v158, v178
	v_lshl_add_u32 v30, v30, 3, 0
	ds_write2_b64 v30, v[102:103], v[100:101] offset1:2
.LBB0_25:
	s_or_b32 exec_lo, exec_lo, s1
	v_add_nc_u32_e32 v38, 0x400, v163
	v_add_nc_u32_e32 v30, 0x1000, v163
	;; [unrolled: 1-line block ×8, first 2 shown]
	s_waitcnt lgkmcnt(0)
	s_barrier
	buffer_gl0_inv
	ds_read2_b64 v[76:79], v163 offset1:56
	ds_read2_b64 v[42:45], v30 offset0:104 offset1:188
	ds_read2_b64 v[34:37], v31 offset0:116 offset1:172
	;; [unrolled: 1-line block ×10, first 2 shown]
	ds_read_b64 v[116:117], v159
	ds_read_b64 v[106:107], v163 offset:10528
	s_and_saveexec_b32 s1, s0
	s_cbranch_execz .LBB0_27
; %bb.26:
	ds_read_b64 v[102:103], v163 offset:5376
	ds_read_b64 v[100:101], v163 offset:10976
.LBB0_27:
	s_or_b32 exec_lo, exec_lo, s1
	v_mul_f64 v[118:119], v[118:119], v[86:87]
	v_mul_f64 v[112:113], v[112:113], v[86:87]
	;; [unrolled: 1-line block ×13, first 2 shown]
	s_waitcnt lgkmcnt(0)
	s_barrier
	buffer_gl0_inv
	v_fma_f64 v[8:9], v[8:9], v[84:85], -v[118:119]
	v_fma_f64 v[56:57], v[56:57], v[84:85], -v[112:113]
	;; [unrolled: 1-line block ×13, first 2 shown]
	v_add_f64 v[8:9], v[10:11], -v[8:9]
	v_add_f64 v[54:55], v[12:13], -v[56:57]
	;; [unrolled: 1-line block ×13, first 2 shown]
	v_fma_f64 v[4:5], v[10:11], 2.0, -v[8:9]
	v_fma_f64 v[10:11], v[12:13], 2.0, -v[54:55]
	;; [unrolled: 1-line block ×13, first 2 shown]
	ds_write2_b64 v179, v[4:5], v[8:9] offset1:2
	ds_write2_b64 v180, v[10:11], v[54:55] offset1:2
	;; [unrolled: 1-line block ×12, first 2 shown]
	s_and_saveexec_b32 s1, s0
	s_cbranch_execz .LBB0_29
; %bb.28:
	v_and_or_b32 v0, 0x57c, v158, v178
	v_lshl_add_u32 v0, v0, 3, 0
	ds_write2_b64 v0, v[84:85], v[62:63] offset1:2
.LBB0_29:
	s_or_b32 exec_lo, exec_lo, s1
	v_add_nc_u32_e32 v0, 0x1000, v163
	v_add_nc_u32_e32 v1, 0x1400, v163
	;; [unrolled: 1-line block ×3, first 2 shown]
	s_waitcnt lgkmcnt(0)
	s_barrier
	buffer_gl0_inv
	ds_read2_b64 v[6:9], v163 offset1:56
	ds_read2_b64 v[2:5], v0 offset0:104 offset1:188
	ds_read2_b64 v[10:13], v1 offset0:116 offset1:172
	;; [unrolled: 1-line block ×4, first 2 shown]
	v_add_nc_u32_e32 v0, 0x400, v163
	v_add_nc_u32_e32 v1, 0x1c00, v163
	;; [unrolled: 1-line block ×5, first 2 shown]
	ds_read2_b64 v[68:71], v0 offset0:96 offset1:152
	ds_read2_b64 v[26:29], v1 offset0:84 offset1:140
	;; [unrolled: 1-line block ×6, first 2 shown]
	ds_read_b64 v[86:87], v159
	ds_read_b64 v[104:105], v163 offset:10528
	s_and_saveexec_b32 s1, s0
	s_cbranch_execz .LBB0_31
; %bb.30:
	ds_read_b64 v[84:85], v163 offset:5376
	ds_read_b64 v[62:63], v163 offset:10976
.LBB0_31:
	s_or_b32 exec_lo, exec_lo, s1
	v_and_b32_e32 v108, 3, v162
	v_lshlrev_b32_e32 v0, 4, v108
	v_and_or_b32 v142, 0x78, v177, v108
	v_and_or_b32 v143, 0xf8, v176, v108
	;; [unrolled: 1-line block ×4, first 2 shown]
	global_load_dwordx4 v[18:21], v0, s[12:13] offset:32
	v_and_or_b32 v149, 0x3f8, v173, v108
	v_and_or_b32 v150, 0x2f8, v172, v108
	v_and_or_b32 v151, 0x3f8, v171, v108
	v_and_or_b32 v156, 0x3f8, v170, v108
	v_and_or_b32 v157, 0x3f8, v169, v108
	v_and_or_b32 v159, 0x7f8, v168, v108
	v_and_or_b32 v161, 0x4f8, v161, v108
	v_and_or_b32 v160, 0x5f8, v160, v108
	s_waitcnt vmcnt(0) lgkmcnt(0)
	s_barrier
	buffer_gl0_inv
	v_mul_f64 v[0:1], v[4:5], v[20:21]
	v_mul_f64 v[109:110], v[10:11], v[20:21]
	;; [unrolled: 1-line block ×13, first 2 shown]
	v_fma_f64 v[0:1], v[44:45], v[18:19], v[0:1]
	v_fma_f64 v[109:110], v[34:35], v[18:19], v[109:110]
	;; [unrolled: 1-line block ×12, first 2 shown]
	v_add_f64 v[136:137], v[76:77], -v[0:1]
	v_fma_f64 v[0:1], v[100:101], v[18:19], v[134:135]
	v_add_f64 v[138:139], v[78:79], -v[109:110]
	v_add_f64 v[140:141], v[80:81], -v[111:112]
	v_add_f64 v[112:113], v[82:83], -v[113:114]
	v_add_f64 v[114:115], v[92:93], -v[118:119]
	v_add_f64 v[118:119], v[94:95], -v[120:121]
	v_add_f64 v[120:121], v[96:97], -v[122:123]
	v_add_f64 v[122:123], v[98:99], -v[124:125]
	v_add_f64 v[124:125], v[116:117], -v[126:127]
	v_add_f64 v[126:127], v[88:89], -v[128:129]
	v_add_f64 v[128:129], v[90:91], -v[130:131]
	v_add_f64 v[130:131], v[42:43], -v[132:133]
	v_lshl_add_u32 v109, v142, 3, 0
	v_lshl_add_u32 v110, v143, 3, 0
	;; [unrolled: 1-line block ×3, first 2 shown]
	v_fma_f64 v[132:133], v[76:77], 2.0, -v[136:137]
	v_add_f64 v[0:1], v[102:103], -v[0:1]
	v_fma_f64 v[134:135], v[78:79], 2.0, -v[138:139]
	v_fma_f64 v[142:143], v[80:81], 2.0, -v[140:141]
	;; [unrolled: 1-line block ×11, first 2 shown]
	v_lshl_add_u32 v76, v148, 3, 0
	v_lshl_add_u32 v77, v149, 3, 0
	;; [unrolled: 1-line block ×9, first 2 shown]
	ds_write2_b64 v109, v[132:133], v[136:137] offset1:4
	ds_write2_b64 v110, v[134:135], v[138:139] offset1:4
	;; [unrolled: 1-line block ×12, first 2 shown]
	s_and_saveexec_b32 s1, s0
	s_cbranch_execz .LBB0_33
; %bb.32:
	v_fma_f64 v[42:43], v[102:103], 2.0, -v[0:1]
	v_and_or_b32 v89, 0x578, v158, v108
	v_lshl_add_u32 v89, v89, 3, 0
	ds_write2_b64 v89, v[42:43], v[0:1] offset1:4
.LBB0_33:
	s_or_b32 exec_lo, exec_lo, s1
	v_mul_f64 v[42:43], v[44:45], v[20:21]
	v_mul_f64 v[34:35], v[34:35], v[20:21]
	;; [unrolled: 1-line block ×13, first 2 shown]
	v_add_nc_u32_e32 v89, 0x400, v163
	v_add_nc_u32_e32 v168, 0x1000, v163
	;; [unrolled: 1-line block ×4, first 2 shown]
	s_waitcnt lgkmcnt(0)
	s_barrier
	buffer_gl0_inv
	v_add_nc_u32_e32 v171, 0x800, v163
	v_add_nc_u32_e32 v90, 0x2400, v163
	v_fma_f64 v[4:5], v[4:5], v[18:19], -v[42:43]
	v_fma_f64 v[34:35], v[10:11], v[18:19], -v[34:35]
	;; [unrolled: 1-line block ×12, first 2 shown]
	ds_read2_b64 v[10:13], v163 offset1:56
	ds_read2_b64 v[20:23], v163 offset0:112 offset1:168
	v_add_nc_u32_e32 v116, 0x1c00, v163
	v_add_f64 v[93:94], v[6:7], -v[4:5]
	v_fma_f64 v[4:5], v[62:63], v[18:19], -v[91:92]
	v_add_f64 v[95:96], v[8:9], -v[34:35]
	v_add_f64 v[97:98], v[14:15], -v[36:37]
	;; [unrolled: 1-line block ×11, first 2 shown]
	ds_read_b64 v[120:121], v163 offset:10752
	ds_read2_b64 v[24:27], v89 offset0:96 offset1:152
	ds_read2_b64 v[60:63], v168 offset0:48 offset1:104
	;; [unrolled: 1-line block ×10, first 2 shown]
	s_waitcnt lgkmcnt(0)
	s_barrier
	buffer_gl0_inv
	v_fma_f64 v[6:7], v[6:7], 2.0, -v[93:94]
	v_add_f64 v[4:5], v[84:85], -v[4:5]
	v_fma_f64 v[8:9], v[8:9], 2.0, -v[95:96]
	v_fma_f64 v[14:15], v[14:15], 2.0, -v[97:98]
	;; [unrolled: 1-line block ×11, first 2 shown]
	ds_write2_b64 v109, v[6:7], v[93:94] offset1:4
	ds_write2_b64 v110, v[8:9], v[95:96] offset1:4
	;; [unrolled: 1-line block ×12, first 2 shown]
	s_and_saveexec_b32 s1, s0
	s_cbranch_execz .LBB0_35
; %bb.34:
	v_fma_f64 v[2:3], v[84:85], 2.0, -v[4:5]
	v_and_or_b32 v6, 0x578, v158, v108
	v_lshl_add_u32 v6, v6, 3, 0
	ds_write2_b64 v6, v[2:3], v[4:5] offset1:4
.LBB0_35:
	s_or_b32 exec_lo, exec_lo, s1
	v_and_b32_e32 v172, 7, v162
	s_waitcnt lgkmcnt(0)
	s_barrier
	buffer_gl0_inv
	v_lshrrev_b32_e32 v122, 3, v165
	v_lshlrev_b32_e32 v2, 6, v172
	v_lshrrev_b32_e32 v14, 3, v162
	v_lshrrev_b32_e32 v15, 3, v164
	v_lshrrev_b32_e32 v123, 3, v166
	v_mul_u32_u24_e32 v122, 40, v122
	s_clause 0x3
	global_load_dwordx4 v[76:79], v2, s[12:13] offset:96
	global_load_dwordx4 v[72:75], v2, s[12:13] offset:112
	;; [unrolled: 1-line block ×4, first 2 shown]
	ds_read2_b64 v[6:9], v89 offset0:96 offset1:152
	ds_read2_b64 v[16:19], v163 offset1:56
	ds_read2_b64 v[112:115], v168 offset0:48 offset1:104
	ds_read2_b64 v[80:83], v170 offset0:16 offset1:72
	;; [unrolled: 1-line block ×9, first 2 shown]
	ds_read_b64 v[2:3], v163 offset:10752
	v_mul_u32_u24_e32 v14, 40, v14
	v_mul_u32_u24_e32 v15, 40, v15
	;; [unrolled: 1-line block ×3, first 2 shown]
	v_or_b32_e32 v223, v122, v172
	v_lshrrev_b32_e32 v124, 3, v167
	v_or_b32_e32 v221, v14, v172
	v_or_b32_e32 v222, v15, v172
	s_mov_b32 s6, 0x134454ff
	s_mov_b32 s7, 0xbfee6f0e
	v_mul_u32_u24_e32 v220, 40, v124
	s_mov_b32 s15, 0x3fee6f0e
	s_mov_b32 s14, s6
	;; [unrolled: 1-line block ×8, first 2 shown]
	ds_read2_b64 v[116:119], v163 offset0:112 offset1:168
	s_waitcnt vmcnt(0) lgkmcnt(0)
	s_barrier
	buffer_gl0_inv
	v_cmp_gt_u32_e64 s0, 32, v162
	v_mul_f64 v[160:161], v[54:55], v[78:79]
	v_mul_f64 v[122:123], v[112:113], v[74:75]
	;; [unrolled: 1-line block ×37, first 2 shown]
	v_fma_f64 v[150:151], v[60:61], v[72:73], v[122:123]
	v_fma_f64 v[122:123], v[112:113], v[72:73], -v[126:127]
	v_fma_f64 v[112:113], v[114:115], v[72:73], -v[142:143]
	;; [unrolled: 1-line block ×3, first 2 shown]
	v_fma_f64 v[160:161], v[30:31], v[68:69], v[128:129]
	v_fma_f64 v[156:157], v[56:57], v[64:65], v[130:131]
	;; [unrolled: 1-line block ×7, first 2 shown]
	v_fma_f64 v[138:139], v[104:105], v[76:77], -v[146:147]
	v_fma_f64 v[146:147], v[40:41], v[68:69], v[173:174]
	v_mul_f64 v[175:176], v[40:41], v[70:71]
	v_fma_f64 v[70:71], v[110:111], v[64:65], -v[148:149]
	v_fma_f64 v[110:111], v[82:83], v[68:69], -v[132:133]
	v_fma_f64 v[132:133], v[36:37], v[72:73], v[177:178]
	v_fma_f64 v[134:135], v[42:43], v[68:69], v[181:182]
	v_fma_f64 v[108:109], v[108:109], v[64:65], -v[136:137]
	v_fma_f64 v[136:137], v[32:33], v[64:65], v[185:186]
	v_mul_f64 v[203:204], v[34:35], v[66:67]
	v_mul_f64 v[66:67], v[120:121], v[66:67]
	v_fma_f64 v[78:79], v[102:103], v[68:69], -v[183:184]
	v_fma_f64 v[102:103], v[88:89], v[76:77], -v[191:192]
	v_fma_f64 v[126:127], v[38:39], v[72:73], v[193:194]
	v_fma_f64 v[88:89], v[98:99], v[72:73], -v[195:196]
	v_fma_f64 v[98:99], v[44:45], v[68:69], v[197:198]
	;; [unrolled: 2-line block ×3, first 2 shown]
	v_fma_f64 v[128:129], v[34:35], v[64:65], v[201:202]
	v_fma_f64 v[8:9], v[92:93], v[64:65], -v[187:188]
	v_fma_f64 v[82:83], v[84:85], v[68:69], -v[199:200]
	v_fma_f64 v[84:85], v[50:51], v[76:77], v[205:206]
	v_fma_f64 v[76:77], v[90:91], v[76:77], -v[207:208]
	v_fma_f64 v[90:91], v[28:29], v[72:73], v[209:210]
	v_fma_f64 v[92:93], v[46:47], v[68:69], v[213:214]
	v_fma_f64 v[96:97], v[96:97], v[72:73], -v[179:180]
	v_fma_f64 v[80:81], v[80:81], v[72:73], -v[211:212]
	;; [unrolled: 1-line block ×3, first 2 shown]
	v_fma_f64 v[86:87], v[120:121], v[64:65], v[217:218]
	v_add_f64 v[14:15], v[150:151], v[160:161]
	v_add_f64 v[34:35], v[158:159], v[156:157]
	;; [unrolled: 1-line block ×3, first 2 shown]
	v_fma_f64 v[100:101], v[100:101], v[68:69], -v[175:176]
	v_add_f64 v[52:53], v[144:145], v[142:143]
	v_add_f64 v[60:61], v[132:133], v[134:135]
	;; [unrolled: 1-line block ×3, first 2 shown]
	v_fma_f64 v[74:75], v[94:95], v[64:65], -v[203:204]
	v_fma_f64 v[68:69], v[2:3], v[64:65], -v[66:67]
	v_add_f64 v[64:65], v[126:127], v[98:99]
	v_add_f64 v[30:31], v[158:159], -v[150:151]
	v_add_f64 v[66:67], v[124:125], v[128:129]
	v_add_f64 v[32:33], v[156:157], -v[160:161]
	v_add_f64 v[36:37], v[150:151], -v[158:159]
	;; [unrolled: 1-line block ×5, first 2 shown]
	v_add_f64 v[185:186], v[90:91], v[92:93]
	v_add_f64 v[2:3], v[10:11], v[158:159]
	v_add_f64 v[26:27], v[148:149], -v[108:109]
	v_add_f64 v[106:107], v[130:131], -v[132:133]
	v_add_f64 v[187:188], v[84:85], v[86:87]
	v_add_f64 v[120:121], v[136:137], -v[134:135]
	v_fma_f64 v[14:15], v[14:15], -0.5, v[10:11]
	v_add_f64 v[28:29], v[122:123], -v[110:111]
	v_add_f64 v[54:55], v[140:141], -v[144:145]
	;; [unrolled: 1-line block ×5, first 2 shown]
	v_fma_f64 v[10:11], v[34:35], -0.5, v[10:11]
	v_add_f64 v[40:41], v[12:13], v[144:145]
	v_add_f64 v[44:45], v[138:139], -v[70:71]
	v_fma_f64 v[34:35], v[42:43], -0.5, v[12:13]
	v_add_f64 v[46:47], v[112:113], -v[100:101]
	v_add_f64 v[177:178], v[22:23], v[124:125]
	v_fma_f64 v[12:13], v[52:53], -0.5, v[12:13]
	v_add_f64 v[58:59], v[20:21], v[130:131]
	v_add_f64 v[94:95], v[114:115], -v[8:9]
	v_add_f64 v[179:180], v[124:125], -v[126:127]
	;; [unrolled: 1-line block ×3, first 2 shown]
	v_fma_f64 v[42:43], v[60:61], -0.5, v[20:21]
	v_add_f64 v[104:105], v[96:97], -v[78:79]
	v_fma_f64 v[20:21], v[62:63], -0.5, v[20:21]
	v_add_f64 v[183:184], v[102:103], -v[74:75]
	;; [unrolled: 2-line block ×4, first 2 shown]
	v_add_f64 v[193:194], v[98:99], -v[128:129]
	v_add_f64 v[199:200], v[24:25], v[84:85]
	v_add_f64 v[205:206], v[76:77], -v[68:69]
	v_add_f64 v[30:31], v[30:31], v[32:33]
	v_add_f64 v[32:33], v[36:37], v[38:39]
	v_add_f64 v[36:37], v[48:49], v[50:51]
	v_fma_f64 v[50:51], v[185:186], -0.5, v[24:25]
	v_add_f64 v[207:208], v[80:81], -v[72:73]
	v_fma_f64 v[24:25], v[187:188], -0.5, v[24:25]
	v_add_f64 v[48:49], v[106:107], v[120:121]
	v_add_f64 v[2:3], v[2:3], v[150:151]
	v_fma_f64 v[120:121], v[26:27], s[6:7], v[14:15]
	v_add_f64 v[38:39], v[54:55], v[56:57]
	v_add_f64 v[54:55], v[173:174], v[175:176]
	v_fma_f64 v[14:15], v[26:27], s[14:15], v[14:15]
	v_fma_f64 v[173:174], v[28:29], s[14:15], v[10:11]
	;; [unrolled: 1-line block ×3, first 2 shown]
	v_add_f64 v[40:41], v[40:41], v[140:141]
	v_fma_f64 v[175:176], v[44:45], s[6:7], v[34:35]
	v_add_f64 v[66:67], v[177:178], v[126:127]
	v_fma_f64 v[34:35], v[44:45], s[14:15], v[34:35]
	v_fma_f64 v[177:178], v[46:47], s[14:15], v[12:13]
	;; [unrolled: 1-line block ×3, first 2 shown]
	v_add_f64 v[56:57], v[179:180], v[181:182]
	v_add_f64 v[58:59], v[58:59], v[132:133]
	v_fma_f64 v[179:180], v[94:95], s[6:7], v[42:43]
	v_fma_f64 v[42:43], v[94:95], s[14:15], v[42:43]
	;; [unrolled: 1-line block ×8, first 2 shown]
	v_add_f64 v[195:196], v[84:85], -v[90:91]
	v_add_f64 v[197:198], v[86:87], -v[92:93]
	v_add_f64 v[60:61], v[191:192], v[193:194]
	v_add_f64 v[106:107], v[199:200], v[90:91]
	v_fma_f64 v[193:194], v[205:206], s[6:7], v[50:51]
	v_add_f64 v[201:202], v[90:91], -v[84:85]
	v_add_f64 v[203:204], v[92:93], -v[86:87]
	v_fma_f64 v[191:192], v[207:208], s[14:15], v[24:25]
	v_fma_f64 v[24:25], v[207:208], s[6:7], v[24:25]
	v_fma_f64 v[50:51], v[205:206], s[14:15], v[50:51]
	v_add_f64 v[2:3], v[2:3], v[160:161]
	v_fma_f64 v[120:121], v[28:29], s[4:5], v[120:121]
	v_fma_f64 v[14:15], v[28:29], s[8:9], v[14:15]
	v_fma_f64 v[28:29], v[26:27], s[4:5], v[173:174]
	v_fma_f64 v[10:11], v[26:27], s[8:9], v[10:11]
	v_add_f64 v[40:41], v[40:41], v[146:147]
	v_fma_f64 v[26:27], v[46:47], s[4:5], v[175:176]
	v_fma_f64 v[34:35], v[46:47], s[8:9], v[34:35]
	v_fma_f64 v[46:47], v[44:45], s[4:5], v[177:178]
	v_fma_f64 v[12:13], v[44:45], s[8:9], v[12:13]
	v_add_f64 v[58:59], v[58:59], v[134:135]
	v_fma_f64 v[44:45], v[104:105], s[4:5], v[179:180]
	v_fma_f64 v[42:43], v[104:105], s[8:9], v[42:43]
	v_fma_f64 v[104:105], v[94:95], s[4:5], v[181:182]
	v_fma_f64 v[20:21], v[94:95], s[8:9], v[20:21]
	v_add_f64 v[66:67], v[66:67], v[98:99]
	v_fma_f64 v[94:95], v[189:190], s[4:5], v[185:186]
	v_fma_f64 v[52:53], v[189:190], s[8:9], v[52:53]
	v_fma_f64 v[173:174], v[183:184], s[4:5], v[187:188]
	;; [unrolled: 1-line block ×3, first 2 shown]
	v_add_f64 v[62:63], v[195:196], v[197:198]
	v_add_f64 v[106:107], v[106:107], v[92:93]
	v_fma_f64 v[177:178], v[207:208], s[4:5], v[193:194]
	v_add_f64 v[64:65], v[201:202], v[203:204]
	v_fma_f64 v[175:176], v[205:206], s[4:5], v[191:192]
	v_fma_f64 v[24:25], v[205:206], s[8:9], v[24:25]
	v_fma_f64 v[50:51], v[207:208], s[8:9], v[50:51]
	v_add_f64 v[2:3], v[2:3], v[156:157]
	v_fma_f64 v[120:121], v[30:31], s[16:17], v[120:121]
	v_fma_f64 v[28:29], v[32:33], s[16:17], v[28:29]
	v_fma_f64 v[10:11], v[32:33], s[16:17], v[10:11]
	v_fma_f64 v[30:31], v[30:31], s[16:17], v[14:15]
	v_add_f64 v[40:41], v[40:41], v[142:143]
	v_fma_f64 v[32:33], v[36:37], s[16:17], v[26:27]
	;; [unrolled: 5-line block ×5, first 2 shown]
	v_fma_f64 v[14:15], v[64:65], s[16:17], v[175:176]
	v_fma_f64 v[24:25], v[64:65], s[16:17], v[24:25]
	;; [unrolled: 1-line block ×3, first 2 shown]
	v_or_b32_e32 v20, v219, v172
	v_or_b32_e32 v50, v220, v172
	v_lshl_add_u32 v94, v221, 3, 0
	v_lshl_add_u32 v23, v222, 3, 0
	;; [unrolled: 1-line block ×5, first 2 shown]
	ds_write2_b64 v94, v[2:3], v[120:121] offset1:8
	ds_write2_b64 v94, v[28:29], v[10:11] offset0:16 offset1:24
	ds_write_b64 v94, v[30:31] offset:256
	ds_write2_b64 v23, v[40:41], v[32:33] offset1:8
	ds_write2_b64 v23, v[36:37], v[38:39] offset0:16 offset1:24
	ds_write_b64 v23, v[34:35] offset:256
	;; [unrolled: 3-line block ×5, first 2 shown]
	s_waitcnt lgkmcnt(0)
	s_barrier
	buffer_gl0_inv
	ds_read2_b64 v[32:35], v163 offset1:56
	ds_read2_b64 v[28:31], v163 offset0:112 offset1:200
	ds_read2_b64 v[60:63], v171 offset0:144 offset1:200
	ds_read2_b64 v[48:51], v168 offset1:88
	ds_read2_b64 v[44:47], v170 offset0:32 offset1:88
	ds_read2_b64 v[36:39], v170 offset0:144 offset1:232
	ds_read2_b64 v[64:67], v169 offset0:176 offset1:232
	ds_read2_b64 v[56:59], v171 offset1:56
	ds_read2_b64 v[40:43], v168 offset0:144 offset1:200
	ds_read2_b64 v[52:55], v169 offset0:32 offset1:88
	ds_read_b64 v[106:107], v163 offset:10496
                                        ; implicit-def: $vgpr104_vgpr105
	s_and_saveexec_b32 s1, s0
	s_cbranch_execz .LBB0_37
; %bb.36:
	v_add_nc_u32_e32 v0, 0x400, v163
	v_add_nc_u32_e32 v1, 0x1100, v163
	;; [unrolled: 1-line block ×3, first 2 shown]
	ds_read2_b64 v[12:15], v0 offset0:40 offset1:240
	ds_read2_b64 v[24:27], v1 offset0:24 offset1:224
	;; [unrolled: 1-line block ×3, first 2 shown]
	ds_read_b64 v[104:105], v163 offset:10944
.LBB0_37:
	s_or_b32 exec_lo, exec_lo, s1
	v_add_f64 v[10:11], v[122:123], v[110:111]
	v_add_f64 v[120:121], v[16:17], v[148:149]
	v_add_f64 v[156:157], v[158:159], -v[156:157]
	v_add_f64 v[168:169], v[148:149], v[108:109]
	v_add_f64 v[174:175], v[112:113], v[100:101]
	;; [unrolled: 1-line block ×3, first 2 shown]
	v_add_f64 v[150:151], v[150:151], -v[160:161]
	v_add_f64 v[158:159], v[148:149], -v[122:123]
	;; [unrolled: 1-line block ×3, first 2 shown]
	v_add_f64 v[172:173], v[18:19], v[138:139]
	v_add_f64 v[182:183], v[96:97], v[78:79]
	;; [unrolled: 1-line block ×3, first 2 shown]
	v_add_f64 v[142:143], v[144:145], -v[142:143]
	v_add_f64 v[140:141], v[140:141], -v[146:147]
	;; [unrolled: 1-line block ×4, first 2 shown]
	v_add_f64 v[190:191], v[88:89], v[82:83]
	v_add_f64 v[192:193], v[102:103], v[74:75]
	v_add_f64 v[148:149], v[122:123], -v[148:149]
	v_add_f64 v[170:171], v[110:111], -v[108:109]
	v_add_f64 v[194:195], v[80:81], v[72:73]
	v_add_f64 v[84:85], v[84:85], -v[86:87]
	v_fma_f64 v[10:11], v[10:11], -0.5, v[16:17]
	v_add_f64 v[120:121], v[120:121], v[122:123]
	v_add_f64 v[86:87], v[90:91], -v[92:93]
	v_fma_f64 v[16:17], v[168:169], -0.5, v[16:17]
	v_fma_f64 v[168:169], v[174:175], -0.5, v[18:19]
	;; [unrolled: 1-line block ×3, first 2 shown]
	v_add_f64 v[90:91], v[76:77], v[68:69]
	v_add_f64 v[138:139], v[112:113], -v[138:139]
	v_add_f64 v[180:181], v[116:117], v[114:115]
	v_add_f64 v[130:131], v[130:131], -v[136:137]
	v_add_f64 v[92:93], v[172:173], v[112:113]
	v_add_f64 v[112:113], v[158:159], v[160:161]
	v_fma_f64 v[158:159], v[182:183], -0.5, v[116:117]
	v_add_f64 v[132:133], v[132:133], -v[134:135]
	v_fma_f64 v[116:117], v[184:185], -0.5, v[116:117]
	v_add_f64 v[188:189], v[118:119], v[102:103]
	v_add_f64 v[124:125], v[124:125], -v[128:129]
	v_add_f64 v[174:175], v[6:7], v[76:77]
	v_add_f64 v[144:145], v[144:145], v[146:147]
	v_fma_f64 v[146:147], v[190:191], -0.5, v[118:119]
	v_add_f64 v[178:179], v[100:101], -v[70:71]
	v_add_f64 v[98:99], v[126:127], -v[98:99]
	v_fma_f64 v[176:177], v[156:157], s[14:15], v[10:11]
	v_fma_f64 v[10:11], v[156:157], s[6:7], v[10:11]
	v_fma_f64 v[118:119], v[192:193], -0.5, v[118:119]
	v_add_f64 v[148:149], v[148:149], v[170:171]
	v_fma_f64 v[160:161], v[194:195], -0.5, v[6:7]
	v_add_f64 v[110:111], v[120:121], v[110:111]
	v_fma_f64 v[120:121], v[150:151], s[6:7], v[16:17]
	v_fma_f64 v[170:171], v[142:143], s[14:15], v[168:169]
	;; [unrolled: 1-line block ×5, first 2 shown]
	v_fma_f64 v[6:7], v[90:91], -0.5, v[6:7]
	v_fma_f64 v[18:19], v[140:141], s[14:15], v[18:19]
	v_add_f64 v[134:135], v[114:115], -v[96:97]
	v_add_f64 v[136:137], v[8:9], -v[78:79]
	;; [unrolled: 1-line block ×3, first 2 shown]
	v_add_f64 v[95:96], v[180:181], v[96:97]
	v_add_f64 v[90:91], v[92:93], v[100:101]
	v_fma_f64 v[92:93], v[130:131], s[14:15], v[158:159]
	v_add_f64 v[186:187], v[78:79], -v[8:9]
	v_fma_f64 v[100:101], v[130:131], s[6:7], v[158:159]
	v_fma_f64 v[158:159], v[132:133], s[6:7], v[116:117]
	;; [unrolled: 1-line block ×5, first 2 shown]
	v_add_f64 v[126:127], v[102:103], -v[88:89]
	v_add_f64 v[128:129], v[74:75], -v[82:83]
	;; [unrolled: 1-line block ×3, first 2 shown]
	v_add_f64 v[88:89], v[188:189], v[88:89]
	v_add_f64 v[150:151], v[174:175], v[80:81]
	v_fma_f64 v[174:175], v[124:125], s[14:15], v[146:147]
	v_add_f64 v[122:123], v[82:83], -v[74:75]
	v_add_f64 v[138:139], v[138:139], v[178:179]
	v_fma_f64 v[146:147], v[124:125], s[6:7], v[146:147]
	v_fma_f64 v[178:179], v[98:99], s[6:7], v[118:119]
	;; [unrolled: 1-line block ×4, first 2 shown]
	v_add_f64 v[108:109], v[110:111], v[108:109]
	v_fma_f64 v[110:111], v[156:157], s[8:9], v[120:121]
	v_fma_f64 v[120:121], v[140:141], s[8:9], v[170:171]
	;; [unrolled: 1-line block ×3, first 2 shown]
	v_add_f64 v[170:171], v[68:69], -v[72:73]
	v_fma_f64 v[16:17], v[156:157], s[4:5], v[16:17]
	v_fma_f64 v[156:157], v[142:143], s[8:9], v[172:173]
	;; [unrolled: 1-line block ×4, first 2 shown]
	v_add_f64 v[10:11], v[76:77], -v[80:81]
	v_fma_f64 v[172:173], v[86:87], s[6:7], v[6:7]
	v_add_f64 v[76:77], v[80:81], -v[76:77]
	v_add_f64 v[80:81], v[72:73], -v[68:69]
	v_fma_f64 v[6:7], v[86:87], s[14:15], v[6:7]
	v_fma_f64 v[160:161], v[84:85], s[6:7], v[160:161]
	v_fma_f64 v[18:19], v[142:143], s[4:5], v[18:19]
	v_add_f64 v[78:79], v[95:96], v[78:79]
	v_fma_f64 v[92:93], v[132:133], s[8:9], v[92:93]
	v_add_f64 v[95:96], v[134:135], v[136:137]
	v_fma_f64 v[100:101], v[132:133], s[4:5], v[100:101]
	v_fma_f64 v[132:133], v[130:131], s[8:9], v[158:159]
	v_add_f64 v[114:115], v[114:115], v[186:187]
	v_fma_f64 v[116:117], v[130:131], s[4:5], v[116:117]
	v_add_f64 v[82:83], v[88:89], v[82:83]
	v_fma_f64 v[88:89], v[98:99], s[8:9], v[174:175]
	v_add_f64 v[126:127], v[126:127], v[128:129]
	v_fma_f64 v[97:98], v[98:99], s[4:5], v[146:147]
	v_fma_f64 v[128:129], v[124:125], s[8:9], v[178:179]
	v_add_f64 v[102:103], v[102:103], v[122:123]
	v_fma_f64 v[118:119], v[124:125], s[4:5], v[118:119]
	v_add_f64 v[72:73], v[150:151], v[72:73]
	;; [unrolled: 2-line block ×4, first 2 shown]
	v_fma_f64 v[6:7], v[84:85], s[4:5], v[6:7]
	v_fma_f64 v[80:81], v[86:87], s[4:5], v[160:161]
	v_fma_f64 v[84:85], v[148:149], s[16:17], v[110:111]
	v_fma_f64 v[16:17], v[148:149], s[16:17], v[16:17]
	v_add_f64 v[86:87], v[90:91], v[70:71]
	v_fma_f64 v[90:91], v[144:145], s[16:17], v[120:121]
	v_fma_f64 v[120:121], v[138:139], s[16:17], v[156:157]
	v_fma_f64 v[18:19], v[138:139], s[16:17], v[18:19]
	v_fma_f64 v[110:111], v[144:145], s[16:17], v[140:141]
	v_add_f64 v[78:79], v[78:79], v[8:9]
	;; [unrolled: 5-line block ×4, first 2 shown]
	v_fma_f64 v[8:9], v[124:125], s[16:17], v[122:123]
	v_fma_f64 v[10:11], v[76:77], s[16:17], v[10:11]
	;; [unrolled: 1-line block ×4, first 2 shown]
	v_add_nc_u32_e32 v6, 0x800, v163
	v_add_nc_u32_e32 v7, 0x1000, v163
	s_waitcnt lgkmcnt(0)
	s_barrier
	buffer_gl0_inv
	ds_write2_b64 v94, v[108:109], v[168:169] offset1:8
	ds_write2_b64 v94, v[84:85], v[16:17] offset0:16 offset1:24
	ds_write_b64 v94, v[112:113] offset:256
	ds_write2_b64 v23, v[86:87], v[90:91] offset1:8
	ds_write2_b64 v23, v[120:121], v[18:19] offset0:16 offset1:24
	ds_write_b64 v23, v[110:111] offset:256
	;; [unrolled: 3-line block ×5, first 2 shown]
	v_add_nc_u32_e32 v72, 0x1800, v163
	v_add_nc_u32_e32 v80, 0x2000, v163
	s_waitcnt lgkmcnt(0)
	s_barrier
	buffer_gl0_inv
	ds_read2_b64 v[16:19], v163 offset1:56
	ds_read2_b64 v[20:23], v163 offset0:112 offset1:200
	ds_read2_b64 v[100:103], v6 offset0:144 offset1:200
	ds_read2_b64 v[76:79], v7 offset1:88
	ds_read2_b64 v[92:95], v72 offset0:32 offset1:88
	ds_read2_b64 v[72:75], v72 offset0:144 offset1:232
	;; [unrolled: 1-line block ×3, first 2 shown]
	ds_read2_b64 v[88:91], v6 offset1:56
	ds_read2_b64 v[84:87], v7 offset0:144 offset1:200
	ds_read2_b64 v[80:83], v80 offset0:32 offset1:88
	ds_read_b64 v[110:111], v163 offset:10496
                                        ; implicit-def: $vgpr108_vgpr109
	s_and_saveexec_b32 s1, s0
	s_cbranch_execz .LBB0_39
; %bb.38:
	v_add_nc_u32_e32 v4, 0x400, v163
	v_add_nc_u32_e32 v5, 0x1100, v163
	;; [unrolled: 1-line block ×3, first 2 shown]
	ds_read2_b64 v[8:11], v4 offset0:40 offset1:240
	ds_read2_b64 v[68:71], v5 offset0:24 offset1:224
	;; [unrolled: 1-line block ×3, first 2 shown]
	ds_read_b64 v[108:109], v163 offset:10944
.LBB0_39:
	s_or_b32 exec_lo, exec_lo, s1
	v_subrev_nc_u32_e32 v112, 40, v162
	v_cmp_gt_u32_e64 s1, 40, v162
	v_mov_b32_e32 v114, 0
	v_and_b32_e32 v115, 0xff, v164
	v_and_b32_e32 v116, 0xff, v165
	v_mov_b32_e32 v132, 6
	v_cndmask_b32_e64 v112, v112, v162, s1
	v_mov_b32_e32 v161, 0x8c0
	v_mul_lo_u16 v115, 0xcd, v115
	v_mul_lo_u16 v118, 0xcd, v116
	s_mov_b32 s14, 0x37e14327
	v_mul_i32_i24_e32 v113, 6, v112
	v_lshlrev_b32_e32 v247, 3, v112
	v_lshrrev_b16 v127, 13, v115
	v_lshrrev_b16 v160, 13, v118
	s_mov_b32 s4, 0x36b3c0b5
	v_lshlrev_b64 v[113:114], 4, v[113:114]
	s_mov_b32 s22, 0xe976ee23
	v_mul_lo_u16 v117, v127, 40
	v_mul_lo_u16 v134, v160, 40
	v_mul_u32_u24_sdwa v248, v127, v161 dst_sel:DWORD dst_unused:UNUSED_PAD src0_sel:WORD_0 src1_sel:DWORD
	v_mul_u32_u24_sdwa v249, v160, v161 dst_sel:DWORD dst_unused:UNUSED_PAD src0_sel:WORD_0 src1_sel:DWORD
	v_add_co_u32 v125, s1, s12, v113
	v_add_co_ci_u32_e64 v126, s1, s13, v114, s1
	v_sub_nc_u16 v151, v164, v117
	v_sub_nc_u16 v134, v165, v134
	s_mov_b32 s6, 0x429ad128
	s_clause 0x3
	global_load_dwordx4 v[113:116], v[125:126], off offset:608
	global_load_dwordx4 v[117:120], v[125:126], off offset:624
	;; [unrolled: 1-line block ×4, first 2 shown]
	v_mul_u32_u24_sdwa v133, v151, v132 dst_sel:DWORD dst_unused:UNUSED_PAD src0_sel:BYTE_0 src1_sel:DWORD
	s_clause 0x1
	global_load_dwordx4 v[135:138], v[125:126], off offset:672
	global_load_dwordx4 v[139:142], v[125:126], off offset:688
	v_mul_u32_u24_sdwa v126, v134, v132 dst_sel:DWORD dst_unused:UNUSED_PAD src0_sel:BYTE_0 src1_sel:DWORD
	v_and_b32_e32 v125, 0xff, v166
	s_mov_b32 s15, 0x3fe948f6
	v_lshlrev_b32_e32 v133, 4, v133
	s_mov_b32 s5, 0x3fac98ee
	v_lshlrev_b32_e32 v126, 4, v126
	v_mul_lo_u16 v125, 0xcd, v125
	s_mov_b32 s23, 0x3fe11646
	s_clause 0xb
	global_load_dwordx4 v[143:146], v133, s[12:13] offset:608
	global_load_dwordx4 v[147:150], v133, s[12:13] offset:624
	;; [unrolled: 1-line block ×12, first 2 shown]
	v_lshrrev_b16 v125, 13, v125
	s_mov_b32 s7, 0xbfebfeb5
	s_mov_b32 s8, 0xaaaaaaaa
	s_mov_b32 s18, 0x5476071b
	s_mov_b32 s24, 0xb247c609
	v_mul_lo_u16 v125, v125, 40
	s_mov_b32 s9, 0xbff2aaaa
	s_mov_b32 s19, 0x3fe77f67
	;; [unrolled: 1-line block ×4, first 2 shown]
	v_sub_nc_u16 v125, v166, v125
	s_mov_b32 s26, s24
	s_mov_b32 s21, 0xbfe77f67
	;; [unrolled: 1-line block ×4, first 2 shown]
	v_and_b32_e32 v244, 0xff, v125
	s_mov_b32 s17, 0xbfdc38aa
	v_cmp_lt_u32_e64 s1, 39, v162
	v_mov_b32_e32 v246, 3
	v_mul_u32_u24_e32 v125, 6, v244
	v_cndmask_b32_e64 v245, 0, 0x8c0, s1
	v_lshlrev_b32_sdwa v151, v246, v151 dst_sel:DWORD dst_unused:UNUSED_PAD src0_sel:DWORD src1_sel:BYTE_0
	v_lshlrev_b32_e32 v125, 4, v125
	s_clause 0x5
	global_load_dwordx4 v[204:207], v125, s[12:13] offset:608
	global_load_dwordx4 v[208:211], v125, s[12:13] offset:624
	;; [unrolled: 1-line block ×6, first 2 shown]
	s_waitcnt vmcnt(0) lgkmcnt(0)
	s_barrier
	buffer_gl0_inv
	v_mul_f64 v[125:126], v[22:23], v[115:116]
	v_mul_f64 v[115:116], v[30:31], v[115:116]
	v_mul_f64 v[132:133], v[100:101], v[119:120]
	v_mul_f64 v[119:120], v[60:61], v[119:120]
	v_mul_f64 v[160:161], v[78:79], v[123:124]
	v_mul_f64 v[228:229], v[50:51], v[123:124]
	v_mul_f64 v[230:231], v[92:93], v[130:131]
	v_mul_f64 v[130:131], v[44:45], v[130:131]
	v_mul_f64 v[232:233], v[74:75], v[137:138]
	v_mul_f64 v[137:138], v[38:39], v[137:138]
	v_mul_f64 v[234:235], v[96:97], v[141:142]
	v_mul_f64 v[141:142], v[64:65], v[141:142]
	v_mul_f64 v[236:237], v[88:89], v[145:146]
	v_mul_f64 v[238:239], v[102:103], v[149:150]
	v_mul_f64 v[145:146], v[56:57], v[145:146]
	v_mul_f64 v[149:150], v[62:63], v[149:150]
	v_mul_f64 v[240:241], v[84:85], v[158:159]
	v_mul_f64 v[158:159], v[40:41], v[158:159]
	v_mul_f64 v[242:243], v[94:95], v[170:171]
	v_fma_f64 v[30:31], v[30:31], v[113:114], v[125:126]
	v_fma_f64 v[124:125], v[22:23], v[113:114], -v[115:116]
	v_mul_f64 v[112:113], v[98:99], v[174:175]
	v_mul_f64 v[114:115], v[80:81], v[178:179]
	v_fma_f64 v[126:127], v[100:101], v[117:118], -v[119:120]
	v_fma_f64 v[100:101], v[50:51], v[121:122], v[160:161]
	v_fma_f64 v[78:79], v[78:79], v[121:122], -v[228:229]
	v_mul_f64 v[50:51], v[90:91], v[186:187]
	v_mul_f64 v[120:121], v[76:77], v[182:183]
	v_fma_f64 v[44:45], v[44:45], v[128:129], v[230:231]
	v_fma_f64 v[92:93], v[92:93], v[128:129], -v[130:131]
	v_mul_f64 v[122:123], v[82:83], v[190:191]
	v_mul_f64 v[128:129], v[110:111], v[194:195]
	v_fma_f64 v[22:23], v[60:61], v[117:118], v[132:133]
	v_fma_f64 v[38:39], v[38:39], v[135:136], v[232:233]
	v_fma_f64 v[130:131], v[74:75], v[135:136], -v[137:138]
	v_fma_f64 v[74:75], v[64:65], v[139:140], v[234:235]
	v_mul_f64 v[60:61], v[46:47], v[170:171]
	v_mul_f64 v[135:136], v[52:53], v[178:179]
	v_fma_f64 v[132:133], v[96:97], v[139:140], -v[141:142]
	v_fma_f64 v[96:97], v[62:63], v[147:148], v[238:239]
	v_mul_f64 v[62:63], v[86:87], v[198:199]
	v_fma_f64 v[116:117], v[56:57], v[143:144], v[236:237]
	v_mul_f64 v[137:138], v[66:67], v[174:175]
	v_fma_f64 v[112:113], v[66:67], v[172:173], v[112:113]
	v_fma_f64 v[118:119], v[52:53], v[176:177], v[114:115]
	v_mul_f64 v[64:65], v[58:59], v[186:187]
	v_mul_f64 v[139:140], v[48:49], v[182:183]
	;; [unrolled: 1-line block ×5, first 2 shown]
	v_fma_f64 v[114:115], v[58:59], v[184:185], v[50:51]
	v_mul_f64 v[50:51], v[54:55], v[190:191]
	v_mul_f64 v[52:53], v[106:107], v[194:195]
	v_fma_f64 v[48:49], v[48:49], v[180:181], v[120:121]
	v_fma_f64 v[120:121], v[106:107], v[192:193], v[128:129]
	;; [unrolled: 1-line block ×3, first 2 shown]
	v_add_f64 v[58:59], v[22:23], v[38:39]
	v_add_f64 v[54:55], v[30:31], v[74:75]
	v_fma_f64 v[122:123], v[88:89], v[143:144], -v[145:146]
	v_fma_f64 v[102:103], v[102:103], v[147:148], -v[149:150]
	v_fma_f64 v[40:41], v[40:41], v[156:157], v[240:241]
	v_fma_f64 v[84:85], v[84:85], v[156:157], -v[158:159]
	v_fma_f64 v[46:47], v[46:47], v[168:169], v[242:243]
	v_fma_f64 v[88:89], v[94:95], v[168:169], -v[60:61]
	v_fma_f64 v[128:129], v[80:81], v[176:177], -v[135:136]
	v_fma_f64 v[42:43], v[42:43], v[196:197], v[62:63]
	v_add_f64 v[60:61], v[116:117], v[112:113]
	v_add_f64 v[62:63], v[96:97], v[118:119]
	v_fma_f64 v[98:99], v[98:99], v[172:173], -v[137:138]
	v_fma_f64 v[94:95], v[90:91], v[184:185], -v[64:65]
	;; [unrolled: 1-line block ×4, first 2 shown]
	v_fma_f64 v[36:37], v[36:37], v[200:201], v[66:67]
	v_fma_f64 v[82:83], v[82:83], v[188:189], -v[50:51]
	v_fma_f64 v[80:81], v[72:73], v[200:201], -v[160:161]
	;; [unrolled: 1-line block ×3, first 2 shown]
	v_add_f64 v[52:53], v[114:115], v[120:121]
	v_add_f64 v[64:65], v[48:49], v[106:107]
	v_mul_f64 v[56:57], v[10:11], v[206:207]
	v_add_f64 v[135:136], v[100:101], v[44:45]
	v_add_f64 v[139:140], v[126:127], -v[130:131]
	v_add_f64 v[141:142], v[92:93], -v[78:79]
	;; [unrolled: 1-line block ×3, first 2 shown]
	v_add_f64 v[147:148], v[58:59], v[54:55]
	v_add_f64 v[149:150], v[40:41], v[46:47]
	v_add_f64 v[158:159], v[88:89], -v[84:85]
	v_add_f64 v[156:157], v[102:103], -v[128:129]
	v_mul_f64 v[66:67], v[14:15], v[206:207]
	v_mul_f64 v[72:73], v[68:69], v[210:211]
	v_add_f64 v[170:171], v[62:63], v[60:61]
	v_add_f64 v[168:169], v[122:123], -v[98:99]
	v_mul_f64 v[110:111], v[24:25], v[210:211]
	v_mul_f64 v[137:138], v[70:71], v[214:215]
	v_mul_f64 v[143:144], v[26:27], v[214:215]
	v_add_f64 v[174:175], v[42:43], v[36:37]
	v_add_f64 v[172:173], v[90:91], -v[82:83]
	v_add_f64 v[176:177], v[80:81], -v[76:77]
	;; [unrolled: 1-line block ×3, first 2 shown]
	v_mul_f64 v[160:161], v[4:5], v[218:219]
	v_add_f64 v[182:183], v[64:65], v[52:53]
	v_fma_f64 v[50:51], v[14:15], v[204:205], v[56:57]
	v_add_f64 v[190:191], v[54:55], -v[135:136]
	v_add_f64 v[192:193], v[135:136], -v[58:59]
	v_add_f64 v[196:197], v[141:142], -v[139:140]
	v_add_f64 v[14:15], v[139:140], -v[145:146]
	v_add_f64 v[56:57], v[135:136], v[147:148]
	v_add_f64 v[135:136], v[60:61], -v[149:150]
	v_add_f64 v[147:148], v[149:150], -v[62:63]
	;; [unrolled: 1-line block ×4, first 2 shown]
	v_add_f64 v[139:140], v[141:142], v[139:140]
	v_add_f64 v[149:150], v[149:150], v[170:171]
	v_add_f64 v[58:59], v[156:157], -v[168:169]
	v_add_f64 v[156:157], v[158:159], v[156:157]
	v_add_f64 v[141:142], v[145:146], -v[141:142]
	v_add_f64 v[60:61], v[62:63], -v[60:61]
	;; [unrolled: 1-line block ×6, first 2 shown]
	v_add_f64 v[172:173], v[176:177], v[172:173]
	v_add_f64 v[182:183], v[174:175], v[182:183]
	v_add_f64 v[174:175], v[174:175], -v[64:65]
	v_mul_f64 v[190:191], v[190:191], s[14:15]
	v_mul_f64 v[206:207], v[192:193], s[4:5]
	;; [unrolled: 1-line block ×4, first 2 shown]
	v_add_f64 v[32:33], v[32:33], v[56:57]
	v_mul_f64 v[135:136], v[135:136], s[14:15]
	v_mul_f64 v[210:211], v[147:148], s[4:5]
	;; [unrolled: 1-line block ×3, first 2 shown]
	v_add_f64 v[52:53], v[64:65], -v[52:53]
	v_add_f64 v[176:177], v[180:181], -v[176:177]
	v_add_f64 v[34:35], v[34:35], v[149:150]
	v_mul_f64 v[64:65], v[58:59], s[6:7]
	v_add_f64 v[139:140], v[139:140], v[145:146]
	v_add_f64 v[156:157], v[156:157], v[168:169]
	v_mul_f64 v[178:179], v[0:1], v[218:219]
	v_mul_f64 v[170:171], v[170:171], s[14:15]
	;; [unrolled: 1-line block ×5, first 2 shown]
	v_add_f64 v[172:173], v[172:173], v[180:181]
	v_add_f64 v[28:29], v[28:29], v[182:183]
	v_mul_f64 v[168:169], v[174:175], s[4:5]
	v_fma_f64 v[180:181], v[192:193], s[4:5], v[190:191]
	v_fma_f64 v[192:193], v[54:55], s[18:19], -v[206:207]
	v_fma_f64 v[206:207], v[141:142], s[24:25], v[62:63]
	v_fma_f64 v[14:15], v[14:15], s[6:7], -v[62:63]
	v_fma_f64 v[62:63], v[141:142], s[26:27], -v[196:197]
	v_fma_f64 v[141:142], v[56:57], s[8:9], v[32:33]
	v_fma_f64 v[190:191], v[54:55], s[20:21], -v[190:191]
	v_fma_f64 v[147:148], v[147:148], s[4:5], v[135:136]
	;; [unrolled: 2-line block ×3, first 2 shown]
	v_fma_f64 v[149:150], v[149:150], s[8:9], v[34:35]
	v_fma_f64 v[198:199], v[58:59], s[6:7], -v[198:199]
	v_fma_f64 v[64:65], v[158:159], s[26:27], -v[64:65]
	;; [unrolled: 1-line block ×3, first 2 shown]
	v_mul_f64 v[186:187], v[2:3], v[222:223]
	v_fma_f64 v[135:136], v[174:175], s[4:5], v[170:171]
	v_fma_f64 v[170:171], v[52:53], s[20:21], -v[170:171]
	v_fma_f64 v[158:159], v[176:177], s[24:25], v[200:201]
	v_fma_f64 v[145:146], v[176:177], s[26:27], -v[145:146]
	v_fma_f64 v[174:175], v[202:203], s[6:7], -v[200:201]
	v_fma_f64 v[176:177], v[182:183], s[8:9], v[28:29]
	v_fma_f64 v[168:169], v[52:53], s[18:19], -v[168:169]
	v_mul_f64 v[188:189], v[108:109], v[226:227]
	v_mul_f64 v[194:195], v[104:105], v[226:227]
	v_fma_f64 v[56:57], v[10:11], v[204:205], -v[66:67]
	v_fma_f64 v[54:55], v[26:27], v[212:213], v[137:138]
	v_fma_f64 v[10:11], v[139:140], s[16:17], v[206:207]
	v_add_f64 v[26:27], v[180:181], v[141:142]
	v_fma_f64 v[52:53], v[24:25], v[208:209], v[72:73]
	v_fma_f64 v[58:59], v[68:69], v[208:209], -v[110:111]
	v_fma_f64 v[14:15], v[139:140], s[16:17], v[14:15]
	v_fma_f64 v[24:25], v[139:140], s[16:17], v[62:63]
	v_add_f64 v[110:111], v[190:191], v[141:142]
	v_add_f64 v[137:138], v[192:193], v[141:142]
	v_fma_f64 v[139:140], v[156:157], s[16:17], v[210:211]
	v_add_f64 v[147:148], v[147:148], v[149:150]
	v_fma_f64 v[141:142], v[156:157], s[16:17], v[198:199]
	v_fma_f64 v[156:157], v[156:157], s[16:17], v[64:65]
	v_add_f64 v[180:181], v[60:61], v[149:150]
	v_add_f64 v[149:150], v[196:197], v[149:150]
	v_fma_f64 v[158:159], v[172:173], s[16:17], v[158:159]
	v_fma_f64 v[174:175], v[172:173], s[16:17], v[174:175]
	v_add_f64 v[135:136], v[135:136], v[176:177]
	v_fma_f64 v[145:146], v[172:173], s[16:17], v[145:146]
	v_add_f64 v[170:171], v[170:171], v[176:177]
	v_add_f64 v[168:169], v[168:169], v[176:177]
	v_fma_f64 v[62:63], v[70:71], v[212:213], -v[143:144]
	v_fma_f64 v[60:61], v[0:1], v[216:217], v[160:161]
	v_fma_f64 v[64:65], v[4:5], v[216:217], -v[178:179]
	v_fma_f64 v[66:67], v[2:3], v[220:221], v[184:185]
	;; [unrolled: 2-line block ×3, first 2 shown]
	v_fma_f64 v[72:73], v[108:109], v[224:225], -v[194:195]
	v_add_f64 v[0:1], v[10:11], v[26:27]
	v_add_f64 v[2:3], v[24:25], v[110:111]
	v_add_f64 v[4:5], v[137:138], -v[14:15]
	v_add_f64 v[6:7], v[14:15], v[137:138]
	v_add_f64 v[14:15], v[110:111], -v[24:25]
	v_add_f64 v[10:11], v[26:27], -v[10:11]
	v_add_f64 v[24:25], v[139:140], v[147:148]
	v_add_f64 v[26:27], v[156:157], v[180:181]
	v_add_f64 v[110:111], v[149:150], -v[141:142]
	v_add_f64 v[137:138], v[141:142], v[149:150]
	v_add_f64 v[141:142], v[180:181], -v[156:157]
	v_add_f64 v[139:140], v[147:148], -v[139:140]
	;; [unrolled: 6-line block ×3, first 2 shown]
	v_lshlrev_b32_sdwa v104, v246, v134 dst_sel:DWORD dst_unused:UNUSED_PAD src0_sel:DWORD src1_sel:BYTE_0
	v_add3_u32 v109, 0, v245, v247
	v_add3_u32 v108, 0, v248, v151
	;; [unrolled: 1-line block ×3, first 2 shown]
	v_lshl_add_u32 v104, v244, 3, 0
	ds_write2_b64 v109, v[32:33], v[0:1] offset1:40
	ds_write2_b64 v109, v[2:3], v[4:5] offset0:80 offset1:120
	ds_write2_b64 v109, v[6:7], v[14:15] offset0:160 offset1:200
	ds_write_b64 v109, v[10:11] offset:1920
	ds_write2_b64 v108, v[34:35], v[24:25] offset1:40
	ds_write2_b64 v108, v[26:27], v[110:111] offset0:80 offset1:120
	ds_write2_b64 v108, v[137:138], v[141:142] offset0:160 offset1:200
	ds_write_b64 v108, v[139:140] offset:1920
	;; [unrolled: 4-line block ×3, first 2 shown]
	s_and_saveexec_b32 s1, s0
	s_cbranch_execz .LBB0_41
; %bb.40:
	v_add_f64 v[0:1], v[50:51], v[68:69]
	v_add_f64 v[2:3], v[52:53], v[66:67]
	v_add_f64 v[4:5], v[64:65], -v[62:63]
	v_add_f64 v[6:7], v[58:59], -v[70:71]
	v_add_f64 v[10:11], v[54:55], v[60:61]
	v_add_f64 v[14:15], v[56:57], -v[72:73]
	v_add_f64 v[24:25], v[2:3], v[0:1]
	v_add_f64 v[26:27], v[4:5], -v[6:7]
	v_add_f64 v[28:29], v[0:1], -v[10:11]
	;; [unrolled: 1-line block ×4, first 2 shown]
	v_add_f64 v[4:5], v[4:5], v[6:7]
	v_add_f64 v[0:1], v[2:3], -v[0:1]
	v_add_f64 v[24:25], v[10:11], v[24:25]
	v_add_f64 v[10:11], v[10:11], -v[2:3]
	v_mul_f64 v[2:3], v[26:27], s[22:23]
	v_mul_f64 v[6:7], v[28:29], s[14:15]
	;; [unrolled: 1-line block ×3, first 2 shown]
	v_add_f64 v[4:5], v[4:5], v[14:15]
	v_add_f64 v[12:13], v[12:13], v[24:25]
	v_mul_f64 v[28:29], v[10:11], s[4:5]
	v_fma_f64 v[14:15], v[34:35], s[24:25], v[2:3]
	v_fma_f64 v[110:111], v[0:1], s[20:21], -v[6:7]
	v_fma_f64 v[6:7], v[10:11], s[4:5], v[6:7]
	v_fma_f64 v[26:27], v[34:35], s[26:27], -v[26:27]
	v_fma_f64 v[2:3], v[32:33], s[6:7], -v[2:3]
	v_fma_f64 v[24:25], v[24:25], s[8:9], v[12:13]
	v_fma_f64 v[0:1], v[0:1], s[18:19], -v[28:29]
	v_fma_f64 v[10:11], v[4:5], s[16:17], v[14:15]
	v_fma_f64 v[14:15], v[4:5], s[16:17], v[26:27]
	;; [unrolled: 1-line block ×3, first 2 shown]
	v_add_f64 v[6:7], v[6:7], v[24:25]
	v_add_f64 v[4:5], v[110:111], v[24:25]
	;; [unrolled: 1-line block ×4, first 2 shown]
	v_add_f64 v[24:25], v[4:5], -v[14:15]
	v_add_f64 v[26:27], v[0:1], -v[2:3]
	v_add_f64 v[4:5], v[14:15], v[4:5]
	v_add_f64 v[0:1], v[2:3], v[0:1]
	v_add_f64 v[2:3], v[6:7], -v[10:11]
	v_add_nc_u32_e32 v6, 0x2000, v104
	v_add_nc_u32_e32 v7, 0x2800, v104
	ds_write2_b64 v6, v[12:13], v[28:29] offset0:96 offset1:136
	ds_write2_b64 v6, v[4:5], v[26:27] offset0:176 offset1:216
	ds_write2_b64 v7, v[0:1], v[24:25] offset1:40
	ds_write_b64 v104, v[2:3] offset:10880
.LBB0_41:
	s_or_b32 exec_lo, exec_lo, s1
	v_add_f64 v[4:5], v[124:125], v[132:133]
	v_add_f64 v[6:7], v[126:127], v[130:131]
	;; [unrolled: 1-line block ×7, first 2 shown]
	v_add_f64 v[28:29], v[30:31], -v[74:75]
	v_add_f64 v[22:23], v[22:23], -v[38:39]
	;; [unrolled: 1-line block ×5, first 2 shown]
	v_add_f64 v[44:45], v[84:85], v[88:89]
	v_add_f64 v[40:41], v[46:47], -v[40:41]
	v_add_f64 v[46:47], v[114:115], -v[120:121]
	;; [unrolled: 1-line block ×3, first 2 shown]
	v_add_f64 v[74:75], v[76:77], v[80:81]
	v_add_f64 v[36:37], v[36:37], -v[42:43]
	v_add_nc_u32_e32 v110, 0x400, v163
	v_add_nc_u32_e32 v111, 0x1000, v163
	;; [unrolled: 1-line block ×5, first 2 shown]
	v_add_f64 v[38:39], v[6:7], v[4:5]
	v_add_nc_u32_e32 v125, 0x2400, v163
	v_add_f64 v[76:77], v[12:13], v[10:11]
	s_waitcnt lgkmcnt(0)
	v_add_f64 v[42:43], v[24:25], v[14:15]
	v_add_f64 v[78:79], v[4:5], -v[26:27]
	v_add_f64 v[80:81], v[26:27], -v[6:7]
	;; [unrolled: 1-line block ×8, first 2 shown]
	v_add_f64 v[22:23], v[30:31], v[22:23]
	v_add_f64 v[92:93], v[48:49], -v[46:47]
	v_add_f64 v[34:35], v[40:41], v[34:35]
	v_add_f64 v[90:91], v[36:37], -v[48:49]
	v_add_f64 v[30:31], v[28:29], -v[30:31]
	v_add_f64 v[48:49], v[36:37], v[48:49]
	v_add_f64 v[40:41], v[32:33], -v[40:41]
	s_barrier
	buffer_gl0_inv
	v_add_f64 v[26:27], v[26:27], v[38:39]
	v_add_f64 v[38:39], v[10:11], -v[44:45]
	v_add_f64 v[44:45], v[44:45], v[76:77]
	v_add_f64 v[76:77], v[14:15], -v[74:75]
	;; [unrolled: 2-line block ×3, first 2 shown]
	v_mul_f64 v[78:79], v[78:79], s[14:15]
	v_add_f64 v[10:11], v[12:13], -v[10:11]
	v_mul_f64 v[12:13], v[82:83], s[22:23]
	v_mul_f64 v[94:95], v[80:81], s[4:5]
	;; [unrolled: 1-line block ×3, first 2 shown]
	v_add_f64 v[14:15], v[24:25], -v[14:15]
	v_mul_f64 v[88:89], v[88:89], s[22:23]
	v_mul_f64 v[24:25], v[6:7], s[6:7]
	v_add_f64 v[22:23], v[22:23], v[28:29]
	v_mul_f64 v[28:29], v[92:93], s[6:7]
	ds_read2_b64 v[0:3], v163 offset1:56
	v_add_nc_u32_e32 v126, 0x1c00, v163
	v_add_f64 v[96:97], v[16:17], v[26:27]
	v_mul_f64 v[16:17], v[38:39], s[14:15]
	v_mul_f64 v[38:39], v[86:87], s[4:5]
	v_add_f64 v[98:99], v[18:19], v[44:45]
	v_add_f64 v[18:19], v[46:47], -v[36:37]
	v_mul_f64 v[36:37], v[76:77], s[14:15]
	v_mul_f64 v[76:77], v[90:91], s[22:23]
	v_add_f64 v[90:91], v[20:21], v[42:43]
	v_add_f64 v[20:21], v[34:35], v[32:33]
	v_mul_f64 v[32:33], v[74:75], s[4:5]
	v_add_f64 v[34:35], v[48:49], v[46:47]
	v_fma_f64 v[46:47], v[80:81], s[4:5], v[78:79]
	v_fma_f64 v[80:81], v[30:31], s[24:25], v[12:13]
	v_fma_f64 v[48:49], v[4:5], s[18:19], -v[94:95]
	v_fma_f64 v[78:79], v[4:5], s[20:21], -v[78:79]
	;; [unrolled: 1-line block ×5, first 2 shown]
	ds_read_b64 v[82:83], v163 offset:10752
	v_fma_f64 v[26:27], v[26:27], s[8:9], v[96:97]
	v_fma_f64 v[84:85], v[86:87], s[4:5], v[16:17]
	v_fma_f64 v[38:39], v[10:11], s[18:19], -v[38:39]
	v_fma_f64 v[86:87], v[40:41], s[24:25], v[88:89]
	v_fma_f64 v[88:89], v[6:7], s[6:7], -v[88:89]
	;; [unrolled: 2-line block ×3, first 2 shown]
	v_fma_f64 v[16:17], v[74:75], s[4:5], v[36:37]
	v_fma_f64 v[44:45], v[18:19], s[24:25], v[76:77]
	v_fma_f64 v[74:75], v[92:93], s[6:7], -v[76:77]
	v_fma_f64 v[18:19], v[18:19], s[26:27], -v[28:29]
	v_fma_f64 v[28:29], v[42:43], s[8:9], v[90:91]
	v_fma_f64 v[36:37], v[14:15], s[20:21], -v[36:37]
	v_fma_f64 v[14:15], v[14:15], s[18:19], -v[32:33]
	v_fma_f64 v[42:43], v[22:23], s[16:17], v[80:81]
	v_fma_f64 v[76:77], v[22:23], s[16:17], v[12:13]
	;; [unrolled: 1-line block ×4, first 2 shown]
	ds_read2_b64 v[4:7], v163 offset0:112 offset1:168
	v_add_f64 v[46:47], v[46:47], v[26:27]
	v_add_f64 v[78:79], v[78:79], v[26:27]
	;; [unrolled: 1-line block ×3, first 2 shown]
	v_fma_f64 v[86:87], v[20:21], s[16:17], v[86:87]
	v_fma_f64 v[88:89], v[20:21], s[16:17], v[88:89]
	v_add_f64 v[84:85], v[84:85], v[40:41]
	v_add_f64 v[94:95], v[10:11], v[40:41]
	v_add_f64 v[38:39], v[38:39], v[40:41]
	v_fma_f64 v[40:41], v[34:35], s[16:17], v[44:45]
	v_fma_f64 v[44:45], v[34:35], s[16:17], v[74:75]
	;; [unrolled: 1-line block ×3, first 2 shown]
	v_add_f64 v[100:101], v[16:17], v[28:29]
	v_add_f64 v[102:103], v[36:37], v[28:29]
	;; [unrolled: 1-line block ×3, first 2 shown]
	ds_read2_b64 v[10:13], v110 offset0:96 offset1:152
	ds_read2_b64 v[18:21], v111 offset0:48 offset1:104
	;; [unrolled: 1-line block ×7, first 2 shown]
	v_add_f64 v[110:111], v[46:47], -v[42:43]
	v_add_f64 v[112:113], v[78:79], -v[80:81]
	v_add_f64 v[114:115], v[76:77], v[48:49]
	v_add_f64 v[76:77], v[48:49], -v[76:77]
	v_add_f64 v[78:79], v[80:81], v[78:79]
	v_add_f64 v[80:81], v[42:43], v[46:47]
	v_add_f64 v[116:117], v[84:85], -v[86:87]
	v_add_f64 v[120:121], v[88:89], v[38:39]
	v_add_f64 v[88:89], v[38:39], -v[88:89]
	;; [unrolled: 2-line block ×3, first 2 shown]
	v_add_f64 v[86:87], v[100:101], -v[40:41]
	v_add_f64 v[100:101], v[40:41], v[100:101]
	v_add_f64 v[122:123], v[44:45], v[106:107]
	v_add_f64 v[106:107], v[106:107], -v[44:45]
	ds_read2_b64 v[38:41], v125 offset0:80 offset1:136
	ds_read2_b64 v[42:45], v124 offset0:192 offset1:248
	ds_read2_b64 v[46:49], v126 offset0:112 offset1:168
	v_add_f64 v[92:93], v[92:93], v[94:95]
	v_add_f64 v[94:95], v[102:103], -v[74:75]
	v_add_f64 v[74:75], v[74:75], v[102:103]
	s_waitcnt lgkmcnt(0)
	s_barrier
	buffer_gl0_inv
	ds_write2_b64 v109, v[96:97], v[110:111] offset1:40
	ds_write2_b64 v109, v[112:113], v[114:115] offset0:80 offset1:120
	ds_write2_b64 v109, v[76:77], v[78:79] offset0:160 offset1:200
	ds_write_b64 v109, v[80:81] offset:1920
	ds_write2_b64 v108, v[98:99], v[116:117] offset1:40
	ds_write2_b64 v108, v[118:119], v[120:121] offset0:80 offset1:120
	ds_write2_b64 v108, v[88:89], v[92:93] offset0:160 offset1:200
	ds_write_b64 v108, v[84:85] offset:1920
	;; [unrolled: 4-line block ×3, first 2 shown]
	s_and_saveexec_b32 s1, s0
	s_cbranch_execz .LBB0_43
; %bb.42:
	v_add_f64 v[56:57], v[56:57], v[72:73]
	v_add_f64 v[58:59], v[58:59], v[70:71]
	;; [unrolled: 1-line block ×3, first 2 shown]
	v_add_f64 v[52:53], v[52:53], -v[66:67]
	v_add_f64 v[54:55], v[60:61], -v[54:55]
	;; [unrolled: 1-line block ×3, first 2 shown]
	s_mov_b32 s4, 0x37e14327
	s_mov_b32 s5, 0x3fe948f6
	;; [unrolled: 1-line block ×10, first 2 shown]
	v_add_f64 v[60:61], v[58:59], v[56:57]
	v_add_f64 v[64:65], v[56:57], -v[62:63]
	v_add_f64 v[66:67], v[62:63], -v[58:59]
	v_add_f64 v[68:69], v[54:55], -v[52:53]
	v_add_f64 v[70:71], v[52:53], -v[50:51]
	v_add_f64 v[56:57], v[58:59], -v[56:57]
	v_add_f64 v[52:53], v[54:55], v[52:53]
	v_add_f64 v[54:55], v[50:51], -v[54:55]
	v_add_f64 v[60:61], v[62:63], v[60:61]
	v_mul_f64 v[58:59], v[64:65], s[4:5]
	s_mov_b32 s4, 0x429ad128
	v_mul_f64 v[62:63], v[66:67], s[6:7]
	v_mul_f64 v[64:65], v[68:69], s[8:9]
	s_mov_b32 s5, 0xbfebfeb5
	s_mov_b32 s8, 0xaaaaaaaa
	v_mul_f64 v[68:69], v[70:71], s[4:5]
	s_mov_b32 s9, 0xbff2aaaa
	v_add_f64 v[50:51], v[52:53], v[50:51]
	v_add_f64 v[8:9], v[8:9], v[60:61]
	v_fma_f64 v[52:53], v[66:67], s[6:7], v[58:59]
	v_fma_f64 v[62:63], v[56:57], s[14:15], -v[62:63]
	s_mov_b32 s15, 0xbfe77f67
	v_fma_f64 v[66:67], v[54:55], s[16:17], v[64:65]
	s_mov_b32 s17, 0x3fd5d0dc
	v_fma_f64 v[64:65], v[70:71], s[4:5], -v[64:65]
	v_fma_f64 v[54:55], v[54:55], s[16:17], -v[68:69]
	v_fma_f64 v[56:57], v[56:57], s[14:15], -v[58:59]
	s_mov_b32 s4, 0x37c3f68c
	s_mov_b32 s5, 0xbfdc38aa
	v_fma_f64 v[60:61], v[60:61], s[8:9], v[8:9]
	v_fma_f64 v[58:59], v[50:51], s[4:5], v[66:67]
	;; [unrolled: 1-line block ×4, first 2 shown]
	v_add_f64 v[52:53], v[52:53], v[60:61]
	v_add_f64 v[54:55], v[56:57], v[60:61]
	;; [unrolled: 1-line block ×3, first 2 shown]
	v_add_f64 v[60:61], v[52:53], -v[58:59]
	v_add_f64 v[62:63], v[54:55], -v[50:51]
	v_add_f64 v[66:67], v[64:65], v[56:57]
	v_add_f64 v[56:57], v[56:57], -v[64:65]
	v_add_f64 v[50:51], v[50:51], v[54:55]
	v_add_f64 v[52:53], v[58:59], v[52:53]
	v_add_nc_u32_e32 v54, 0x2000, v104
	v_add_nc_u32_e32 v55, 0x2800, v104
	ds_write2_b64 v54, v[8:9], v[60:61] offset0:96 offset1:136
	ds_write2_b64 v54, v[62:63], v[66:67] offset0:176 offset1:216
	ds_write2_b64 v55, v[56:57], v[50:51] offset1:40
	ds_write_b64 v104, v[52:53] offset:10880
.LBB0_43:
	s_or_b32 exec_lo, exec_lo, s1
	s_waitcnt lgkmcnt(0)
	s_barrier
	buffer_gl0_inv
	s_and_saveexec_b32 s0, vcc_lo
	s_cbranch_execz .LBB0_45
; %bb.44:
	v_lshlrev_b32_e32 v8, 2, v167
	v_mov_b32_e32 v9, 0
	v_lshrrev_b32_e32 v142, 3, v162
	v_add_nc_u32_e32 v171, 0x1800, v163
	v_add_nc_u32_e32 v167, 0x800, v163
	;; [unrolled: 1-line block ×3, first 2 shown]
	v_lshlrev_b64 v[50:51], 4, v[8:9]
	v_lshlrev_b32_e32 v8, 2, v166
	v_add_nc_u32_e32 v175, 0x1000, v163
	v_add_nc_u32_e32 v181, 0x2000, v163
	v_lshlrev_b64 v[179:180], 4, v[152:153]
	s_mov_b32 s6, 0x134454ff
	v_add_co_u32 v52, vcc_lo, s12, v50
	v_add_co_ci_u32_e32 v53, vcc_lo, s13, v51, vcc_lo
	v_lshlrev_b64 v[50:51], 4, v[8:9]
	v_add_co_u32 v58, vcc_lo, 0x1160, v52
	v_add_co_ci_u32_e32 v59, vcc_lo, 0, v53, vcc_lo
	v_add_co_u32 v52, vcc_lo, 0x1000, v52
	v_add_co_ci_u32_e32 v53, vcc_lo, 0, v53, vcc_lo
	v_add_co_u32 v62, vcc_lo, s12, v50
	v_lshlrev_b32_e32 v8, 2, v165
	v_add_co_ci_u32_e32 v63, vcc_lo, s13, v51, vcc_lo
	v_add_co_u32 v60, vcc_lo, 0x1000, v62
	v_lshlrev_b64 v[84:85], 4, v[8:9]
	v_add_co_ci_u32_e32 v61, vcc_lo, 0, v63, vcc_lo
	v_add_co_u32 v70, vcc_lo, 0x1160, v62
	v_add_co_ci_u32_e32 v71, vcc_lo, 0, v63, vcc_lo
	v_add_co_u32 v88, vcc_lo, s12, v84
	v_lshlrev_b32_e32 v8, 2, v164
	v_add_co_ci_u32_e32 v89, vcc_lo, s13, v85, vcc_lo
	v_add_co_u32 v84, vcc_lo, 0x1160, v88
	v_lshlrev_b64 v[86:87], 4, v[8:9]
	v_add_co_ci_u32_e32 v85, vcc_lo, 0, v89, vcc_lo
	v_add_co_u32 v88, vcc_lo, 0x1000, v88
	v_add_co_ci_u32_e32 v89, vcc_lo, 0, v89, vcc_lo
	v_add_co_u32 v94, vcc_lo, s12, v86
	v_lshlrev_b32_e32 v8, 2, v162
	v_add_co_ci_u32_e32 v95, vcc_lo, s13, v87, vcc_lo
	s_clause 0x7
	global_load_dwordx4 v[50:53], v[52:53], off offset:352
	global_load_dwordx4 v[54:57], v[58:59], off offset:48
	;; [unrolled: 1-line block ×8, first 2 shown]
	v_add_co_u32 v102, vcc_lo, 0x1000, v94
	v_lshlrev_b64 v[110:111], 4, v[8:9]
	v_add_co_ci_u32_e32 v103, vcc_lo, 0, v95, vcc_lo
	v_add_co_u32 v114, vcc_lo, 0x1160, v94
	v_add_co_ci_u32_e32 v115, vcc_lo, 0, v95, vcc_lo
	v_add_co_u32 v8, vcc_lo, s12, v110
	v_add_co_ci_u32_e32 v118, vcc_lo, s13, v111, vcc_lo
	s_clause 0x5
	global_load_dwordx4 v[86:89], v[88:89], off offset:352
	global_load_dwordx4 v[90:93], v[84:85], off offset:48
	;; [unrolled: 1-line block ×6, first 2 shown]
	v_add_co_u32 v84, vcc_lo, 0x1160, v8
	v_add_co_ci_u32_e32 v85, vcc_lo, 0, v118, vcc_lo
	v_add_co_u32 v122, vcc_lo, 0x1000, v8
	v_add_co_ci_u32_e32 v123, vcc_lo, 0, v118, vcc_lo
	s_clause 0x5
	global_load_dwordx4 v[110:113], v[114:115], off offset:32
	global_load_dwordx4 v[114:117], v[114:115], off offset:16
	;; [unrolled: 1-line block ×6, first 2 shown]
	v_mul_lo_u32 v8, s3, v154
	v_mul_lo_u32 v164, s2, v155
	v_mad_u64_u32 v[84:85], null, s2, v154, 0
	ds_read_b64 v[183:184], v163 offset:10752
	v_add_nc_u32_e32 v154, 0x400, v163
	v_add_nc_u32_e32 v165, 0x2400, v163
	ds_read2_b64 v[134:137], v163 offset0:112 offset1:168
	ds_read2_b64 v[138:141], v163 offset1:56
	v_mul_hi_u32 v163, 0xea0ea0f, v142
	ds_read2_b64 v[142:145], v171 offset0:16 offset1:72
	ds_read2_b64 v[146:149], v167 offset0:192 offset1:248
	;; [unrolled: 1-line block ×5, first 2 shown]
	v_add3_u32 v85, v85, v164, v8
	s_mov_b32 s7, 0x3fee6f0e
	s_mov_b32 s9, 0xbfee6f0e
	;; [unrolled: 1-line block ×4, first 2 shown]
	v_lshlrev_b64 v[84:85], 4, v[84:85]
	v_lshrrev_b32_e32 v172, 1, v163
	ds_read2_b64 v[163:166], v165 offset0:80 offset1:136
	ds_read2_b64 v[167:170], v167 offset0:80 offset1:136
	s_mov_b32 s3, 0xbfe2cf23
	s_mov_b32 s5, 0x3fe2cf23
	;; [unrolled: 1-line block ×3, first 2 shown]
	v_mul_u32_u24_e32 v182, 0x118, v172
	v_add_co_u32 v84, vcc_lo, s10, v84
	v_add_co_ci_u32_e32 v85, vcc_lo, s11, v85, vcc_lo
	v_sub_nc_u32_e32 v182, v162, v182
	v_add_co_u32 v84, vcc_lo, v84, v179
	ds_read2_b64 v[171:174], v171 offset0:128 offset1:184
	ds_read2_b64 v[175:178], v175 offset0:48 offset1:104
	v_add_co_ci_u32_e32 v85, vcc_lo, v85, v180, vcc_lo
	v_lshlrev_b32_e32 v185, 4, v182
	ds_read2_b64 v[179:182], v181 offset0:96 offset1:152
	s_mov_b32 s0, 0x372fe950
	s_mov_b32 s1, 0x3fd3c6ef
	v_add_nc_u32_e32 v249, 56, v162
	v_add_co_u32 v185, vcc_lo, v84, v185
	v_add_co_ci_u32_e32 v186, vcc_lo, 0, v85, vcc_lo
	v_lshrrev_b32_e32 v8, 3, v249
	v_add_co_u32 v187, vcc_lo, 0x1000, v185
	v_add_co_ci_u32_e32 v188, vcc_lo, 0, v186, vcc_lo
	v_mul_hi_u32 v8, 0xea0ea0f, v8
	v_lshrrev_b32_e32 v8, 1, v8
	s_waitcnt vmcnt(19)
	v_mul_f64 v[191:192], v[44:45], v[52:53]
	s_waitcnt vmcnt(17)
	v_mul_f64 v[193:194], v[48:49], v[76:77]
	;; [unrolled: 2-line block ×3, first 2 shown]
	v_mul_f64 v[195:196], v[82:83], v[56:57]
	s_waitcnt lgkmcnt(9)
	v_mul_f64 v[80:81], v[142:143], v[80:81]
	s_waitcnt lgkmcnt(7)
	v_mul_f64 v[76:77], v[152:153], v[76:77]
	v_mul_f64 v[52:53], v[148:149], v[52:53]
	v_mul_f64 v[56:57], v[183:184], v[56:57]
	s_waitcnt vmcnt(12)
	v_mul_f64 v[197:198], v[36:37], v[72:73]
	v_mul_f64 v[199:200], v[42:43], v[60:61]
	;; [unrolled: 1-line block ×4, first 2 shown]
	s_waitcnt lgkmcnt(5)
	v_mul_f64 v[72:73], v[160:161], v[72:73]
	v_mul_f64 v[68:69], v[150:151], v[68:69]
	;; [unrolled: 1-line block ×3, first 2 shown]
	s_waitcnt lgkmcnt(4)
	v_mul_f64 v[64:65], v[165:166], v[64:65]
	s_waitcnt vmcnt(8)
	v_mul_f64 v[205:206], v[34:35], v[100:101]
	v_mul_f64 v[207:208], v[28:29], v[88:89]
	v_mul_f64 v[209:210], v[32:33], v[96:97]
	v_mul_f64 v[211:212], v[38:39], v[92:93]
	v_mul_f64 v[100:101], v[158:159], v[100:101]
	s_waitcnt lgkmcnt(2)
	v_mul_f64 v[96:97], v[173:174], v[96:97]
	v_mul_f64 v[88:89], v[169:170], v[88:89]
	;; [unrolled: 1-line block ×3, first 2 shown]
	s_waitcnt vmcnt(7)
	v_mul_f64 v[215:216], v[26:27], v[104:105]
	s_waitcnt vmcnt(6)
	v_mul_f64 v[219:220], v[16:17], v[108:109]
	v_fma_f64 v[183:184], v[54:55], v[183:184], -v[195:196]
	s_waitcnt vmcnt(4)
	v_mul_f64 v[213:214], v[20:21], v[116:117]
	s_waitcnt lgkmcnt(1)
	v_mul_f64 v[116:117], v[177:178], v[116:117]
	v_mul_f64 v[104:105], v[167:168], v[104:105]
	v_fma_f64 v[54:55], v[82:83], v[54:55], v[56:57]
	s_waitcnt lgkmcnt(0)
	v_mul_f64 v[56:57], v[181:182], v[108:109]
	s_waitcnt vmcnt(3)
	v_mul_f64 v[82:83], v[18:19], v[120:121]
	s_waitcnt vmcnt(2)
	v_mul_f64 v[108:109], v[12:13], v[124:125]
	v_fma_f64 v[142:143], v[78:79], v[142:143], -v[189:190]
	v_fma_f64 v[22:23], v[22:23], v[78:79], v[80:81]
	s_waitcnt vmcnt(1)
	v_mul_f64 v[78:79], v[24:25], v[128:129]
	s_waitcnt vmcnt(0)
	v_mul_f64 v[80:81], v[14:15], v[132:133]
	v_fma_f64 v[152:153], v[74:75], v[152:153], -v[193:194]
	v_fma_f64 v[48:49], v[48:49], v[74:75], v[76:77]
	v_mul_f64 v[74:75], v[175:176], v[120:121]
	v_mul_f64 v[76:77], v[144:145], v[128:129]
	v_fma_f64 v[120:121], v[50:51], v[148:149], -v[191:192]
	v_fma_f64 v[44:45], v[44:45], v[50:51], v[52:53]
	v_mul_f64 v[50:51], v[156:157], v[124:125]
	v_mul_f64 v[52:53], v[179:180], v[132:133]
	v_fma_f64 v[124:125], v[70:71], v[160:161], -v[197:198]
	v_fma_f64 v[128:129], v[58:59], v[146:147], -v[199:200]
	;; [unrolled: 1-line block ×4, first 2 shown]
	v_mul_f64 v[217:218], v[30:31], v[112:113]
	v_mul_f64 v[112:113], v[171:172], v[112:113]
	v_fma_f64 v[36:37], v[36:37], v[70:71], v[72:73]
	v_fma_f64 v[46:47], v[46:47], v[66:67], v[68:69]
	;; [unrolled: 1-line block ×4, first 2 shown]
	v_fma_f64 v[58:59], v[98:99], v[158:159], -v[205:206]
	v_fma_f64 v[60:61], v[86:87], v[169:170], -v[207:208]
	v_fma_f64 v[34:35], v[34:35], v[98:99], v[100:101]
	v_fma_f64 v[32:33], v[32:33], v[94:95], v[96:97]
	;; [unrolled: 1-line block ×4, first 2 shown]
	v_fma_f64 v[68:69], v[102:103], v[167:168], -v[215:216]
	v_fma_f64 v[20:21], v[20:21], v[114:115], v[116:117]
	v_fma_f64 v[26:27], v[26:27], v[102:103], v[104:105]
	;; [unrolled: 1-line block ×3, first 2 shown]
	v_fma_f64 v[16:17], v[118:119], v[175:176], -v[82:83]
	v_fma_f64 v[82:83], v[122:123], v[156:157], -v[108:109]
	;; [unrolled: 1-line block ×4, first 2 shown]
	v_fma_f64 v[18:19], v[18:19], v[118:119], v[74:75]
	v_fma_f64 v[24:25], v[24:25], v[126:127], v[76:77]
	;; [unrolled: 1-line block ×4, first 2 shown]
	v_add_f64 v[14:15], v[142:143], -v[120:121]
	v_add_f64 v[52:53], v[152:153], -v[183:184]
	;; [unrolled: 1-line block ×6, first 2 shown]
	v_fma_f64 v[62:63], v[94:95], v[173:174], -v[209:210]
	v_fma_f64 v[64:65], v[90:91], v[163:164], -v[211:212]
	;; [unrolled: 1-line block ×3, first 2 shown]
	v_add_f64 v[76:77], v[120:121], v[183:184]
	v_add_f64 v[86:87], v[44:45], -v[54:55]
	v_add_f64 v[88:89], v[120:121], -v[142:143]
	;; [unrolled: 1-line block ×3, first 2 shown]
	v_add_f64 v[92:93], v[142:143], v[152:153]
	v_add_f64 v[102:103], v[44:45], v[54:55]
	v_add_f64 v[106:107], v[44:45], -v[22:23]
	v_add_f64 v[44:45], v[10:11], v[44:45]
	v_fma_f64 v[66:67], v[114:115], v[177:178], -v[213:214]
	v_fma_f64 v[70:71], v[110:111], v[171:172], -v[217:218]
	v_fma_f64 v[30:31], v[30:31], v[110:111], v[112:113]
	v_add_f64 v[108:109], v[54:55], -v[48:49]
	v_add_f64 v[118:119], v[128:129], v[146:147]
	v_add_f64 v[130:131], v[124:125], v[132:133]
	v_add_f64 v[148:149], v[36:37], -v[42:43]
	v_add_f64 v[150:151], v[46:47], -v[40:41]
	;; [unrolled: 1-line block ×4, first 2 shown]
	v_add_f64 v[189:190], v[60:61], v[134:135]
	v_add_f64 v[195:196], v[28:29], v[38:39]
	v_add_f64 v[213:214], v[26:27], -v[56:57]
	v_add_f64 v[221:222], v[68:69], v[140:141]
	v_add_f64 v[223:224], v[20:21], -v[26:27]
	;; [unrolled: 2-line block ×3, first 2 shown]
	v_add_f64 v[26:27], v[2:3], v[26:27]
	v_add_f64 v[243:244], v[82:83], v[80:81]
	;; [unrolled: 1-line block ×9, first 2 shown]
	v_add_f64 v[74:75], v[22:23], -v[48:49]
	v_add_f64 v[94:95], v[120:121], v[154:155]
	v_add_f64 v[110:111], v[22:23], v[48:49]
	v_add_f64 v[112:113], v[124:125], -v[128:129]
	v_add_f64 v[114:115], v[132:133], -v[146:147]
	v_add_f64 v[144:145], v[128:129], v[136:137]
	v_add_f64 v[156:157], v[42:43], v[40:41]
	v_add_f64 v[177:178], v[60:61], -v[58:59]
	v_add_f64 v[179:180], v[64:65], -v[62:63]
	v_fma_f64 v[76:77], v[76:77], -0.5, v[154:155]
	v_fma_f64 v[92:93], v[92:93], -0.5, v[154:155]
	v_add_f64 v[154:155], v[12:13], -v[50:51]
	v_add_f64 v[88:89], v[88:89], v[90:91]
	v_add_f64 v[90:91], v[18:19], -v[12:13]
	v_add_f64 v[22:23], v[22:23], v[44:45]
	;; [unrolled: 2-line block ×3, first 2 shown]
	v_add_f64 v[167:168], v[58:59], -v[60:61]
	v_add_f64 v[169:170], v[62:63], -v[64:65]
	v_add_f64 v[181:182], v[58:59], v[62:63]
	v_add_f64 v[197:198], v[58:59], -v[62:63]
	v_add_f64 v[205:206], v[66:67], -v[68:69]
	;; [unrolled: 1-line block ×6, first 2 shown]
	v_add_f64 v[219:220], v[66:67], v[70:71]
	v_add_f64 v[229:230], v[66:67], -v[70:71]
	v_add_f64 v[235:236], v[20:21], v[30:31]
	v_add_f64 v[237:238], v[16:17], -v[82:83]
	v_add_f64 v[245:246], v[82:83], -v[16:17]
	;; [unrolled: 1-line block ×3, first 2 shown]
	v_add_f64 v[106:107], v[106:107], v[108:109]
	v_add_f64 v[108:109], v[16:17], -v[78:79]
	v_fma_f64 v[118:119], v[118:119], -0.5, v[136:137]
	v_fma_f64 v[130:131], v[130:131], -0.5, v[136:137]
	v_add_f64 v[136:137], v[148:149], v[150:151]
	v_add_f64 v[148:149], v[160:161], v[163:164]
	v_add_f64 v[58:59], v[58:59], v[189:190]
	v_fma_f64 v[163:164], v[195:196], -0.5, v[4:5]
	v_add_f64 v[66:67], v[66:67], v[221:222]
	v_add_f64 v[20:21], v[20:21], v[26:27]
	v_fma_f64 v[26:27], v[243:244], -0.5, v[138:139]
	v_fma_f64 v[138:139], v[247:248], -0.5, v[138:139]
	v_add_f64 v[14:15], v[16:17], v[14:15]
	v_fma_f64 v[16:17], v[98:99], -0.5, v[0:1]
	v_fma_f64 v[0:1], v[126:127], -0.5, v[0:1]
	v_add_f64 v[100:101], v[120:121], -v[183:184]
	v_add_f64 v[104:105], v[142:143], -v[152:153]
	;; [unrolled: 1-line block ×5, first 2 shown]
	v_add_f64 v[42:43], v[6:7], v[42:43]
	v_add_f64 v[173:174], v[60:61], v[64:65]
	v_add_f64 v[175:176], v[28:29], -v[38:39]
	v_add_f64 v[191:192], v[34:35], -v[28:29]
	;; [unrolled: 1-line block ×3, first 2 shown]
	v_add_f64 v[28:29], v[4:5], v[28:29]
	v_add_f64 v[211:212], v[68:69], v[72:73]
	v_add_f64 v[241:242], v[18:19], -v[24:25]
	v_fma_f64 v[102:103], v[102:103], -0.5, v[10:11]
	v_fma_f64 v[10:11], v[110:111], -0.5, v[10:11]
	v_add_f64 v[94:95], v[142:143], v[94:95]
	v_add_f64 v[142:143], v[24:25], -v[50:51]
	v_add_f64 v[112:113], v[112:113], v[114:115]
	v_add_f64 v[114:115], v[50:51], -v[24:25]
	v_add_f64 v[124:125], v[124:125], v[144:145]
	v_fma_f64 v[144:145], v[156:157], -0.5, v[6:7]
	v_add_f64 v[156:157], v[177:178], v[179:180]
	v_fma_f64 v[177:178], v[227:228], -0.5, v[2:3]
	v_add_f64 v[12:13], v[18:19], v[12:13]
	v_add_f64 v[60:61], v[60:61], -v[64:65]
	v_add_f64 v[110:111], v[80:81], -v[78:79]
	v_add_f64 v[150:151], v[167:168], v[169:170]
	v_add_f64 v[167:168], v[205:206], v[207:208]
	;; [unrolled: 1-line block ×4, first 2 shown]
	v_fma_f64 v[62:63], v[197:198], s[8:9], v[163:164]
	v_add_f64 v[66:67], v[70:71], v[66:67]
	v_fma_f64 v[205:206], v[154:155], s[8:9], v[138:139]
	v_fma_f64 v[138:139], v[154:155], s[6:7], v[138:139]
	;; [unrolled: 1-line block ×3, first 2 shown]
	v_add_f64 v[165:166], v[36:37], v[46:47]
	v_add_f64 v[128:129], v[128:129], -v[146:147]
	v_add_f64 v[171:172], v[34:35], -v[32:33]
	;; [unrolled: 1-line block ×3, first 2 shown]
	v_add_f64 v[203:204], v[34:35], v[32:33]
	v_add_f64 v[225:226], v[30:31], -v[56:57]
	v_add_f64 v[68:69], v[68:69], -v[72:73]
	;; [unrolled: 1-line block ×4, first 2 shown]
	v_add_f64 v[36:37], v[36:37], v[42:43]
	v_fma_f64 v[42:43], v[173:174], -0.5, v[134:135]
	v_add_f64 v[28:29], v[34:35], v[28:29]
	v_fma_f64 v[34:35], v[211:212], -0.5, v[140:141]
	v_fma_f64 v[140:141], v[219:220], -0.5, v[140:141]
	;; [unrolled: 1-line block ×3, first 2 shown]
	v_add_f64 v[90:91], v[90:91], v[142:143]
	v_add_f64 v[114:115], v[44:45], v[114:115]
	v_fma_f64 v[18:19], v[74:75], s[6:7], v[76:77]
	v_fma_f64 v[44:45], v[74:75], s[8:9], v[76:77]
	;; [unrolled: 1-line block ×4, first 2 shown]
	v_add_f64 v[94:95], v[152:153], v[94:95]
	v_fma_f64 v[98:99], v[104:105], s[8:9], v[102:103]
	v_fma_f64 v[102:103], v[104:105], s[6:7], v[102:103]
	;; [unrolled: 1-line block ×4, first 2 shown]
	v_add_f64 v[22:23], v[22:23], v[48:49]
	v_fma_f64 v[48:49], v[116:117], s[6:7], v[118:119]
	v_fma_f64 v[142:143], v[120:121], s[8:9], v[130:131]
	v_add_f64 v[124:125], v[132:133], v[124:125]
	v_fma_f64 v[132:133], v[158:159], s[8:9], v[144:145]
	v_fma_f64 v[163:164], v[197:198], s[6:7], v[163:164]
	v_fma_f64 v[70:71], v[229:230], s[8:9], v[177:178]
	v_fma_f64 v[177:178], v[229:230], s[6:7], v[177:178]
	v_add_f64 v[20:21], v[20:21], v[30:31]
	v_fma_f64 v[30:31], v[241:242], s[6:7], v[26:27]
	v_fma_f64 v[26:27], v[241:242], s[8:9], v[26:27]
	v_add_f64 v[78:79], v[78:79], v[14:15]
	v_fma_f64 v[207:208], v[108:109], s[8:9], v[16:17]
	v_fma_f64 v[211:212], v[108:109], s[6:7], v[16:17]
	v_add_f64 v[24:25], v[12:13], v[24:25]
	v_add_f64 v[110:111], v[245:246], v[110:111]
	;; [unrolled: 1-line block ×3, first 2 shown]
	v_fma_f64 v[58:59], v[60:61], s[4:5], v[62:63]
	v_add_f64 v[16:17], v[72:73], v[66:67]
	v_fma_f64 v[62:63], v[241:242], s[4:5], v[138:139]
	v_fma_f64 v[66:67], v[108:109], s[2:3], v[217:218]
	v_fma_f64 v[6:7], v[165:166], -0.5, v[6:7]
	v_fma_f64 v[130:131], v[120:121], s[6:7], v[130:131]
	v_fma_f64 v[215:216], v[82:83], s[6:7], v[0:1]
	v_add_f64 v[193:194], v[32:33], -v[38:39]
	v_fma_f64 v[134:135], v[181:182], -0.5, v[134:135]
	v_add_f64 v[165:166], v[199:200], v[201:202]
	v_fma_f64 v[4:5], v[203:204], -0.5, v[4:5]
	v_add_f64 v[181:182], v[237:238], v[239:240]
	v_add_f64 v[36:37], v[36:37], v[46:47]
	v_fma_f64 v[46:47], v[171:172], s[6:7], v[42:43]
	v_fma_f64 v[42:43], v[171:172], s[8:9], v[42:43]
	v_add_f64 v[28:29], v[28:29], v[32:33]
	v_fma_f64 v[32:33], v[209:210], s[6:7], v[34:35]
	v_fma_f64 v[34:35], v[209:210], s[8:9], v[34:35]
	;; [unrolled: 1-line block ×10, first 2 shown]
	v_add_f64 v[2:3], v[183:184], v[94:95]
	v_fma_f64 v[86:87], v[100:101], s[4:5], v[98:99]
	v_fma_f64 v[92:93], v[100:101], s[2:3], v[102:103]
	;; [unrolled: 1-line block ×9, first 2 shown]
	v_add_f64 v[14:15], v[20:21], v[56:57]
	v_fma_f64 v[177:178], v[154:155], s[2:3], v[30:31]
	v_fma_f64 v[154:155], v[154:155], s[4:5], v[26:27]
	v_add_f64 v[20:21], v[80:81], v[78:79]
	v_fma_f64 v[138:139], v[82:83], s[4:5], v[207:208]
	v_fma_f64 v[82:83], v[82:83], s[2:3], v[211:212]
	;; [unrolled: 3-line block ×3, first 2 shown]
	v_fma_f64 v[118:119], v[116:117], s[8:9], v[118:119]
	v_fma_f64 v[144:145], v[158:159], s[6:7], v[144:145]
	;; [unrolled: 1-line block ×7, first 2 shown]
	v_add_f64 v[160:161], v[191:192], v[193:194]
	v_fma_f64 v[191:192], v[175:176], s[8:9], v[134:135]
	v_fma_f64 v[134:135], v[175:176], s[6:7], v[134:135]
	v_add_f64 v[179:180], v[231:232], v[233:234]
	v_fma_f64 v[193:194], v[60:61], s[6:7], v[4:5]
	v_fma_f64 v[195:196], v[60:61], s[8:9], v[4:5]
	v_add_f64 v[6:7], v[146:147], v[124:125]
	v_add_f64 v[4:5], v[36:37], v[40:41]
	v_fma_f64 v[124:125], v[175:176], s[2:3], v[46:47]
	v_fma_f64 v[126:127], v[175:176], s[4:5], v[42:43]
	;; [unrolled: 1-line block ×10, first 2 shown]
	global_store_dwordx4 v[185:186], v[18:21], off
	global_store_dwordx4 v[187:188], v[62:65], off offset:384
	v_mul_u32_u24_e32 v62, 0x118, v8
	v_add_f64 v[173:174], v[223:224], v[225:226]
	v_add_f64 v[0:1], v[22:23], v[54:55]
	v_fma_f64 v[22:23], v[96:97], s[0:1], v[86:87]
	v_fma_f64 v[26:27], v[96:97], s[0:1], v[92:93]
	v_fma_f64 v[30:31], v[106:107], s[0:1], v[94:95]
	v_fma_f64 v[96:97], v[181:182], s[0:1], v[177:178]
	v_fma_f64 v[94:95], v[90:91], s[0:1], v[138:139]
	v_fma_f64 v[54:55], v[120:121], s[4:5], v[118:119]
	v_fma_f64 v[116:117], v[128:129], s[2:3], v[144:145]
	v_fma_f64 v[118:119], v[158:159], s[4:5], v[152:153]
	v_fma_f64 v[120:121], v[158:159], s[2:3], v[189:190]
	v_add_f64 v[10:11], v[28:29], v[38:39]
	v_fma_f64 v[144:145], v[213:214], s[2:3], v[32:33]
	v_fma_f64 v[158:159], v[68:69], s[4:5], v[70:71]
	;; [unrolled: 1-line block ×8, first 2 shown]
	v_sub_nc_u32_e32 v64, v249, v62
	v_add_nc_u32_e32 v82, 0x70, v162
	v_fma_f64 v[128:129], v[171:172], s[2:3], v[191:192]
	v_fma_f64 v[130:131], v[171:172], s[4:5], v[134:135]
	;; [unrolled: 1-line block ×3, first 2 shown]
	v_mad_u32_u24 v8, 0x578, v8, v64
	v_lshrrev_b32_e32 v64, 3, v82
	v_fma_f64 v[171:172], v[229:230], s[4:5], v[201:202]
	v_add_co_u32 v18, vcc_lo, 0x2000, v185
	v_add_co_ci_u32_e32 v19, vcc_lo, 0, v186, vcc_lo
	v_add_co_u32 v20, vcc_lo, 0x3000, v185
	v_mul_hi_u32 v83, 0xea0ea0f, v64
	v_add_co_ci_u32_e32 v21, vcc_lo, 0, v186, vcc_lo
	v_add_co_u32 v62, vcc_lo, 0x4000, v185
	v_add_co_ci_u32_e32 v63, vcc_lo, 0, v186, vcc_lo
	v_fma_f64 v[92:93], v[169:170], s[0:1], v[140:141]
	v_fma_f64 v[90:91], v[179:180], s[0:1], v[175:176]
	global_store_dwordx4 v[18:19], v[98:101], off offset:768
	global_store_dwordx4 v[20:21], v[94:97], off offset:1152
	global_store_dwordx4 v[62:63], v[102:105], off offset:1536
	v_add_nc_u32_e32 v20, 0x118, v8
	v_mov_b32_e32 v21, v9
	v_fma_f64 v[80:81], v[167:168], s[0:1], v[146:147]
	v_fma_f64 v[78:79], v[173:174], s[0:1], v[163:164]
	v_lshrrev_b32_e32 v94, 1, v83
	v_fma_f64 v[32:33], v[88:89], s[0:1], v[76:77]
	v_fma_f64 v[36:37], v[88:89], s[0:1], v[74:75]
	;; [unrolled: 1-line block ×4, first 2 shown]
	v_lshlrev_b64 v[18:19], 4, v[8:9]
	v_add_nc_u32_e32 v62, 0x230, v8
	v_mov_b32_e32 v63, v9
	v_lshlrev_b64 v[20:21], 4, v[20:21]
	v_add_nc_u32_e32 v64, 0x348, v8
	v_mov_b32_e32 v65, v9
	v_mul_u32_u24_e32 v83, 0x118, v94
	v_fma_f64 v[142:143], v[197:198], s[2:3], v[195:196]
	v_add_co_u32 v18, vcc_lo, v84, v18
	v_lshlrev_b64 v[62:63], 4, v[62:63]
	v_add_co_ci_u32_e32 v19, vcc_lo, v85, v19, vcc_lo
	v_fma_f64 v[88:89], v[169:170], s[0:1], v[152:153]
	v_fma_f64 v[86:87], v[179:180], s[0:1], v[171:172]
	v_add_co_u32 v20, vcc_lo, v84, v20
	v_lshlrev_b64 v[64:65], 4, v[64:65]
	v_add_nc_u32_e32 v8, 0x460, v8
	v_sub_nc_u32_e32 v95, v82, v83
	v_add_co_ci_u32_e32 v21, vcc_lo, v85, v21, vcc_lo
	v_add_co_u32 v62, vcc_lo, v84, v62
	v_add_co_ci_u32_e32 v63, vcc_lo, v85, v63, vcc_lo
	v_lshlrev_b64 v[82:83], 4, v[8:9]
	v_mad_u32_u24 v8, 0x578, v94, v95
	v_add_co_u32 v64, vcc_lo, v84, v64
	v_add_co_ci_u32_e32 v65, vcc_lo, v85, v65, vcc_lo
	global_store_dwordx4 v[18:19], v[14:17], off
	global_store_dwordx4 v[20:21], v[90:93], off
	;; [unrolled: 1-line block ×4, first 2 shown]
	v_lshlrev_b64 v[14:15], 4, v[8:9]
	v_fma_f64 v[134:135], v[197:198], s[4:5], v[193:194]
	v_add_nc_u32_e32 v62, 0xa8, v162
	v_add_co_u32 v16, vcc_lo, v84, v82
	v_add_co_ci_u32_e32 v17, vcc_lo, v85, v83, vcc_lo
	v_add_co_u32 v14, vcc_lo, v84, v14
	v_lshrrev_b32_e32 v63, 3, v62
	v_fma_f64 v[72:73], v[156:157], s[0:1], v[130:131]
	v_fma_f64 v[70:71], v[165:166], s[0:1], v[142:143]
	v_add_co_ci_u32_e32 v15, vcc_lo, v85, v15, vcc_lo
	v_fma_f64 v[44:45], v[112:113], s[0:1], v[54:55]
	v_fma_f64 v[60:61], v[150:151], s[0:1], v[126:127]
	;; [unrolled: 1-line block ×4, first 2 shown]
	v_add_nc_u32_e32 v18, 0x118, v8
	v_mov_b32_e32 v19, v9
	global_store_dwordx4 v[16:17], v[86:89], off
	global_store_dwordx4 v[14:15], v[10:13], off
	v_mul_hi_u32 v16, 0xea0ea0f, v63
	v_add_nc_u32_e32 v20, 0x230, v8
	v_mov_b32_e32 v21, v9
	v_lshlrev_b64 v[18:19], 4, v[18:19]
	v_fma_f64 v[56:57], v[150:151], s[0:1], v[124:125]
	v_fma_f64 v[68:69], v[156:157], s[0:1], v[128:129]
	;; [unrolled: 1-line block ×3, first 2 shown]
	v_lshlrev_b64 v[10:11], 4, v[20:21]
	v_lshrrev_b32_e32 v16, 1, v16
	v_add_co_u32 v12, vcc_lo, v84, v18
	v_add_co_ci_u32_e32 v13, vcc_lo, v85, v19, vcc_lo
	v_add_co_u32 v10, vcc_lo, v84, v10
	v_add_nc_u32_e32 v14, 0x348, v8
	v_mov_b32_e32 v15, v9
	v_add_nc_u32_e32 v8, 0x460, v8
	v_mul_u32_u24_e32 v17, 0x118, v16
	v_add_co_ci_u32_e32 v11, vcc_lo, v85, v11, vcc_lo
	v_lshlrev_b64 v[14:15], 4, v[14:15]
	global_store_dwordx4 v[12:13], v[70:73], off
	global_store_dwordx4 v[10:11], v[58:61], off
	v_lshlrev_b64 v[10:11], 4, v[8:9]
	v_sub_nc_u32_e32 v8, v62, v17
	v_add_nc_u32_e32 v18, 0xe0, v162
	v_add_co_u32 v12, vcc_lo, v84, v14
	v_add_co_ci_u32_e32 v13, vcc_lo, v85, v15, vcc_lo
	v_mad_u32_u24 v8, 0x578, v16, v8
	v_add_co_u32 v10, vcc_lo, v84, v10
	v_mov_b32_e32 v15, v9
	v_add_co_ci_u32_e32 v11, vcc_lo, v85, v11, vcc_lo
	v_add_nc_u32_e32 v14, 0x118, v8
	v_lshlrev_b64 v[16:17], 4, v[8:9]
	global_store_dwordx4 v[12:13], v[54:57], off
	global_store_dwordx4 v[10:11], v[66:69], off
	v_fma_f64 v[50:51], v[148:149], s[0:1], v[120:121]
	v_fma_f64 v[42:43], v[136:137], s[0:1], v[116:117]
	v_lshlrev_b64 v[10:11], 4, v[14:15]
	v_lshrrev_b32_e32 v14, 3, v18
	v_add_co_u32 v12, vcc_lo, v84, v16
	v_add_co_ci_u32_e32 v13, vcc_lo, v85, v17, vcc_lo
	v_mul_hi_u32 v19, 0xea0ea0f, v14
	v_add_nc_u32_e32 v14, 0x230, v8
	v_fma_f64 v[46:47], v[148:149], s[0:1], v[118:119]
	global_store_dwordx4 v[12:13], v[4:7], off
	v_add_nc_u32_e32 v16, 0x348, v8
	v_mov_b32_e32 v17, v9
	v_add_co_u32 v10, vcc_lo, v84, v10
	v_lshrrev_b32_e32 v12, 1, v19
	v_lshlrev_b64 v[4:5], 4, v[14:15]
	v_add_co_ci_u32_e32 v11, vcc_lo, v85, v11, vcc_lo
	v_add_nc_u32_e32 v8, 0x460, v8
	v_mul_u32_u24_e32 v13, 0x118, v12
	v_lshlrev_b64 v[6:7], 4, v[16:17]
	global_store_dwordx4 v[10:11], v[50:53], off
	v_add_co_u32 v4, vcc_lo, v84, v4
	v_lshlrev_b64 v[10:11], 4, v[8:9]
	v_sub_nc_u32_e32 v8, v18, v13
	v_add_co_ci_u32_e32 v5, vcc_lo, v85, v5, vcc_lo
	v_add_co_u32 v6, vcc_lo, v84, v6
	v_add_co_ci_u32_e32 v7, vcc_lo, v85, v7, vcc_lo
	v_mad_u32_u24 v8, 0x578, v12, v8
	v_add_co_u32 v10, vcc_lo, v84, v10
	v_add_co_ci_u32_e32 v11, vcc_lo, v85, v11, vcc_lo
	v_add_nc_u32_e32 v12, 0x118, v8
	v_mov_b32_e32 v13, v9
	global_store_dwordx4 v[4:5], v[42:45], off
	global_store_dwordx4 v[6:7], v[38:41], off
	v_lshlrev_b64 v[4:5], 4, v[8:9]
	global_store_dwordx4 v[10:11], v[46:49], off
	v_add_nc_u32_e32 v10, 0x230, v8
	v_mov_b32_e32 v11, v9
	v_lshlrev_b64 v[6:7], 4, v[12:13]
	v_add_nc_u32_e32 v12, 0x348, v8
	v_add_co_u32 v4, vcc_lo, v84, v4
	v_lshlrev_b64 v[10:11], 4, v[10:11]
	v_add_nc_u32_e32 v8, 0x460, v8
	v_add_co_ci_u32_e32 v5, vcc_lo, v85, v5, vcc_lo
	v_add_co_u32 v6, vcc_lo, v84, v6
	v_lshlrev_b64 v[12:13], 4, v[12:13]
	v_add_co_ci_u32_e32 v7, vcc_lo, v85, v7, vcc_lo
	v_add_co_u32 v10, vcc_lo, v84, v10
	v_lshlrev_b64 v[8:9], 4, v[8:9]
	v_add_co_ci_u32_e32 v11, vcc_lo, v85, v11, vcc_lo
	v_add_co_u32 v12, vcc_lo, v84, v12
	v_add_co_ci_u32_e32 v13, vcc_lo, v85, v13, vcc_lo
	v_add_co_u32 v8, vcc_lo, v84, v8
	v_add_co_ci_u32_e32 v9, vcc_lo, v85, v9, vcc_lo
	global_store_dwordx4 v[4:5], v[0:3], off
	global_store_dwordx4 v[6:7], v[34:37], off
	;; [unrolled: 1-line block ×5, first 2 shown]
.LBB0_45:
	s_endpgm
	.section	.rodata,"a",@progbits
	.p2align	6, 0x0
	.amdhsa_kernel fft_rtc_back_len1400_factors_2_2_2_5_7_5_wgs_56_tpt_56_halfLds_dp_op_CI_CI_unitstride_sbrr_dirReg
		.amdhsa_group_segment_fixed_size 0
		.amdhsa_private_segment_fixed_size 0
		.amdhsa_kernarg_size 104
		.amdhsa_user_sgpr_count 6
		.amdhsa_user_sgpr_private_segment_buffer 1
		.amdhsa_user_sgpr_dispatch_ptr 0
		.amdhsa_user_sgpr_queue_ptr 0
		.amdhsa_user_sgpr_kernarg_segment_ptr 1
		.amdhsa_user_sgpr_dispatch_id 0
		.amdhsa_user_sgpr_flat_scratch_init 0
		.amdhsa_user_sgpr_private_segment_size 0
		.amdhsa_wavefront_size32 1
		.amdhsa_uses_dynamic_stack 0
		.amdhsa_system_sgpr_private_segment_wavefront_offset 0
		.amdhsa_system_sgpr_workgroup_id_x 1
		.amdhsa_system_sgpr_workgroup_id_y 0
		.amdhsa_system_sgpr_workgroup_id_z 0
		.amdhsa_system_sgpr_workgroup_info 0
		.amdhsa_system_vgpr_workitem_id 0
		.amdhsa_next_free_vgpr 250
		.amdhsa_next_free_sgpr 28
		.amdhsa_reserve_vcc 1
		.amdhsa_reserve_flat_scratch 0
		.amdhsa_float_round_mode_32 0
		.amdhsa_float_round_mode_16_64 0
		.amdhsa_float_denorm_mode_32 3
		.amdhsa_float_denorm_mode_16_64 3
		.amdhsa_dx10_clamp 1
		.amdhsa_ieee_mode 1
		.amdhsa_fp16_overflow 0
		.amdhsa_workgroup_processor_mode 1
		.amdhsa_memory_ordered 1
		.amdhsa_forward_progress 0
		.amdhsa_shared_vgpr_count 0
		.amdhsa_exception_fp_ieee_invalid_op 0
		.amdhsa_exception_fp_denorm_src 0
		.amdhsa_exception_fp_ieee_div_zero 0
		.amdhsa_exception_fp_ieee_overflow 0
		.amdhsa_exception_fp_ieee_underflow 0
		.amdhsa_exception_fp_ieee_inexact 0
		.amdhsa_exception_int_div_zero 0
	.end_amdhsa_kernel
	.text
.Lfunc_end0:
	.size	fft_rtc_back_len1400_factors_2_2_2_5_7_5_wgs_56_tpt_56_halfLds_dp_op_CI_CI_unitstride_sbrr_dirReg, .Lfunc_end0-fft_rtc_back_len1400_factors_2_2_2_5_7_5_wgs_56_tpt_56_halfLds_dp_op_CI_CI_unitstride_sbrr_dirReg
                                        ; -- End function
	.section	.AMDGPU.csdata,"",@progbits
; Kernel info:
; codeLenInByte = 19960
; NumSgprs: 30
; NumVgprs: 250
; ScratchSize: 0
; MemoryBound: 1
; FloatMode: 240
; IeeeMode: 1
; LDSByteSize: 0 bytes/workgroup (compile time only)
; SGPRBlocks: 3
; VGPRBlocks: 31
; NumSGPRsForWavesPerEU: 30
; NumVGPRsForWavesPerEU: 250
; Occupancy: 4
; WaveLimiterHint : 1
; COMPUTE_PGM_RSRC2:SCRATCH_EN: 0
; COMPUTE_PGM_RSRC2:USER_SGPR: 6
; COMPUTE_PGM_RSRC2:TRAP_HANDLER: 0
; COMPUTE_PGM_RSRC2:TGID_X_EN: 1
; COMPUTE_PGM_RSRC2:TGID_Y_EN: 0
; COMPUTE_PGM_RSRC2:TGID_Z_EN: 0
; COMPUTE_PGM_RSRC2:TIDIG_COMP_CNT: 0
	.text
	.p2alignl 6, 3214868480
	.fill 48, 4, 3214868480
	.type	__hip_cuid_8d9f22b37b209a7b,@object ; @__hip_cuid_8d9f22b37b209a7b
	.section	.bss,"aw",@nobits
	.globl	__hip_cuid_8d9f22b37b209a7b
__hip_cuid_8d9f22b37b209a7b:
	.byte	0                               ; 0x0
	.size	__hip_cuid_8d9f22b37b209a7b, 1

	.ident	"AMD clang version 19.0.0git (https://github.com/RadeonOpenCompute/llvm-project roc-6.4.0 25133 c7fe45cf4b819c5991fe208aaa96edf142730f1d)"
	.section	".note.GNU-stack","",@progbits
	.addrsig
	.addrsig_sym __hip_cuid_8d9f22b37b209a7b
	.amdgpu_metadata
---
amdhsa.kernels:
  - .args:
      - .actual_access:  read_only
        .address_space:  global
        .offset:         0
        .size:           8
        .value_kind:     global_buffer
      - .offset:         8
        .size:           8
        .value_kind:     by_value
      - .actual_access:  read_only
        .address_space:  global
        .offset:         16
        .size:           8
        .value_kind:     global_buffer
      - .actual_access:  read_only
        .address_space:  global
        .offset:         24
        .size:           8
        .value_kind:     global_buffer
      - .actual_access:  read_only
        .address_space:  global
        .offset:         32
        .size:           8
        .value_kind:     global_buffer
      - .offset:         40
        .size:           8
        .value_kind:     by_value
      - .actual_access:  read_only
        .address_space:  global
        .offset:         48
        .size:           8
        .value_kind:     global_buffer
      - .actual_access:  read_only
        .address_space:  global
        .offset:         56
        .size:           8
        .value_kind:     global_buffer
      - .offset:         64
        .size:           4
        .value_kind:     by_value
      - .actual_access:  read_only
        .address_space:  global
        .offset:         72
        .size:           8
        .value_kind:     global_buffer
      - .actual_access:  read_only
        .address_space:  global
        .offset:         80
        .size:           8
        .value_kind:     global_buffer
      - .actual_access:  read_only
        .address_space:  global
        .offset:         88
        .size:           8
        .value_kind:     global_buffer
      - .actual_access:  write_only
        .address_space:  global
        .offset:         96
        .size:           8
        .value_kind:     global_buffer
    .group_segment_fixed_size: 0
    .kernarg_segment_align: 8
    .kernarg_segment_size: 104
    .language:       OpenCL C
    .language_version:
      - 2
      - 0
    .max_flat_workgroup_size: 56
    .name:           fft_rtc_back_len1400_factors_2_2_2_5_7_5_wgs_56_tpt_56_halfLds_dp_op_CI_CI_unitstride_sbrr_dirReg
    .private_segment_fixed_size: 0
    .sgpr_count:     30
    .sgpr_spill_count: 0
    .symbol:         fft_rtc_back_len1400_factors_2_2_2_5_7_5_wgs_56_tpt_56_halfLds_dp_op_CI_CI_unitstride_sbrr_dirReg.kd
    .uniform_work_group_size: 1
    .uses_dynamic_stack: false
    .vgpr_count:     250
    .vgpr_spill_count: 0
    .wavefront_size: 32
    .workgroup_processor_mode: 1
amdhsa.target:   amdgcn-amd-amdhsa--gfx1030
amdhsa.version:
  - 1
  - 2
...

	.end_amdgpu_metadata
